;; amdgpu-corpus repo=ROCm/rocFFT kind=compiled arch=gfx1030 opt=O3
	.text
	.amdgcn_target "amdgcn-amd-amdhsa--gfx1030"
	.amdhsa_code_object_version 6
	.protected	bluestein_single_back_len1445_dim1_dp_op_CI_CI ; -- Begin function bluestein_single_back_len1445_dim1_dp_op_CI_CI
	.globl	bluestein_single_back_len1445_dim1_dp_op_CI_CI
	.p2align	8
	.type	bluestein_single_back_len1445_dim1_dp_op_CI_CI,@function
bluestein_single_back_len1445_dim1_dp_op_CI_CI: ; @bluestein_single_back_len1445_dim1_dp_op_CI_CI
; %bb.0:
	s_load_dwordx4 s[16:19], s[4:5], 0x28
	v_mul_u32_u24_e32 v1, 0x304, v0
	s_mov_b64 s[62:63], s[2:3]
	s_mov_b64 s[60:61], s[0:1]
	v_mov_b32_e32 v5, 0
	s_add_u32 s60, s60, s7
	v_lshrrev_b32_e32 v1, 16, v1
	s_addc_u32 s61, s61, 0
	s_mov_b32 s0, exec_lo
	v_add_nc_u32_e32 v4, s6, v1
	s_waitcnt lgkmcnt(0)
	v_cmpx_gt_u64_e64 s[16:17], v[4:5]
	s_cbranch_execz .LBB0_10
; %bb.1:
	s_clause 0x1
	s_load_dwordx4 s[8:11], s[4:5], 0x18
	s_load_dwordx4 s[0:3], s[4:5], 0x0
	v_mul_lo_u16 v1, 0x55, v1
	v_mov_b32_e32 v5, v4
	s_mov_b32 s30, 0x5d8e7cdc
	s_mov_b32 s38, 0x2a9d6da3
	;; [unrolled: 1-line block ×3, first 2 shown]
	v_sub_nc_u16 v108, v0, v1
	s_mov_b32 s36, 0xeb564b22
	s_mov_b32 s24, 0x923c349f
	;; [unrolled: 1-line block ×4, first 2 shown]
	v_and_b32_e32 v196, 0xffff, v108
	s_mov_b32 s34, 0xacd6c6b4
	s_mov_b32 s31, 0xbfd71e95
	;; [unrolled: 1-line block ×4, first 2 shown]
	v_lshlrev_b32_e32 v160, 4, v196
	s_mov_b32 s37, 0xbfefdd0d
	s_mov_b32 s25, 0xbfeec746
	s_waitcnt lgkmcnt(0)
	s_load_dwordx4 s[12:15], s[8:9], 0x0
	buffer_store_dword v5, off, s[60:63], 0 offset:48 ; 4-byte Folded Spill
	buffer_store_dword v6, off, s[60:63], 0 offset:52 ; 4-byte Folded Spill
	s_clause 0x1
	global_load_dwordx4 v[78:81], v160, s[0:1]
	global_load_dwordx4 v[62:65], v160, s[0:1] offset:1360
	v_add_co_u32 v162, s0, s0, v160
	v_add_co_ci_u32_e64 v163, null, s1, 0, s0
	s_mov_b32 s27, 0xbfe9895b
	s_mov_b32 s29, 0xbfe0d888
	;; [unrolled: 1-line block ×13, first 2 shown]
	s_waitcnt lgkmcnt(0)
	v_mad_u64_u32 v[0:1], null, s14, v4, 0
	v_mad_u64_u32 v[2:3], null, s12, v196, 0
	s_mul_i32 s6, s13, 0x550
	s_mul_hi_u32 s8, s12, 0x550
	s_mul_i32 s7, s12, 0x550
	s_add_i32 s6, s8, s6
	s_mov_b32 s49, 0x3feec746
	s_mov_b32 s48, s24
	v_mad_u64_u32 v[4:5], null, s15, v4, v[1:2]
	s_mov_b32 s14, 0x3259b75e
	s_mov_b32 s15, 0x3fb79ee6
	;; [unrolled: 1-line block ×6, first 2 shown]
	v_mad_u64_u32 v[5:6], null, s13, v196, v[3:4]
	v_mov_b32_e32 v1, v4
	s_mov_b32 s12, 0xc61f0d01
	s_mov_b32 s13, 0xbfd183b1
	;; [unrolled: 1-line block ×4, first 2 shown]
	v_lshlrev_b64 v[0:1], 4, v[0:1]
	v_mov_b32_e32 v3, v5
	s_mov_b32 s53, 0x3fe9895b
	s_mov_b32 s52, s26
	s_load_dwordx2 s[4:5], s[4:5], 0x38
                                        ; implicit-def: $vgpr164_vgpr165
                                        ; implicit-def: $vgpr168_vgpr169
	v_lshlrev_b64 v[2:3], 4, v[2:3]
	v_add_co_u32 v0, vcc_lo, s18, v0
	v_add_co_ci_u32_e32 v1, vcc_lo, s19, v1, vcc_lo
	s_mov_b32 s18, 0x7faef3
	v_add_co_u32 v4, vcc_lo, v0, v2
	v_add_co_ci_u32_e32 v5, vcc_lo, v1, v3, vcc_lo
	s_mov_b32 s19, 0xbfef7484
	v_add_co_u32 v8, vcc_lo, v4, s7
	v_add_co_ci_u32_e32 v9, vcc_lo, s6, v5, vcc_lo
	global_load_dwordx4 v[0:3], v[4:5], off
	v_add_co_u32 v12, vcc_lo, 0x800, v162
	global_load_dwordx4 v[4:7], v[8:9], off
	v_add_co_ci_u32_e32 v13, vcc_lo, 0, v163, vcc_lo
	v_add_co_u32 v14, vcc_lo, v8, s7
	v_add_co_ci_u32_e32 v15, vcc_lo, s6, v9, vcc_lo
	global_load_dwordx4 v[70:73], v[12:13], off offset:672
	global_load_dwordx4 v[8:11], v[14:15], off
	v_add_co_u32 v16, vcc_lo, v14, s7
	v_add_co_ci_u32_e32 v17, vcc_lo, s6, v15, vcc_lo
	v_add_co_u32 v18, vcc_lo, 0x1000, v162
	v_add_co_ci_u32_e32 v19, vcc_lo, 0, v163, vcc_lo
	v_add_co_u32 v20, vcc_lo, v16, s7
	v_add_co_ci_u32_e32 v21, vcc_lo, s6, v17, vcc_lo
	v_add_co_u32 v24, vcc_lo, 0x1800, v162
	v_add_co_ci_u32_e32 v25, vcc_lo, 0, v163, vcc_lo
	v_add_co_u32 v26, vcc_lo, v20, s7
	v_add_co_ci_u32_e32 v27, vcc_lo, s6, v21, vcc_lo
	global_load_dwordx4 v[66:69], v[12:13], off offset:2032
	global_load_dwordx4 v[12:15], v[16:17], off
	v_add_co_u32 v28, vcc_lo, v26, s7
	v_add_co_ci_u32_e32 v29, vcc_lo, s6, v27, vcc_lo
	v_add_co_u32 v30, vcc_lo, 0x2000, v162
	v_add_co_ci_u32_e32 v31, vcc_lo, 0, v163, vcc_lo
	v_add_co_u32 v32, vcc_lo, v28, s7
	v_add_co_ci_u32_e32 v33, vcc_lo, s6, v29, vcc_lo
	v_add_co_u32 v36, vcc_lo, 0x2800, v162
	;; [unrolled: 12-line block ×3, first 2 shown]
	v_add_co_ci_u32_e32 v49, vcc_lo, 0, v163, vcc_lo
	v_add_co_u32 v50, vcc_lo, v44, s7
	v_add_co_ci_u32_e32 v51, vcc_lo, s6, v45, vcc_lo
	global_load_dwordx4 v[86:89], v[24:25], off offset:656
	global_load_dwordx4 v[20:23], v[26:27], off
	v_add_co_u32 v52, vcc_lo, v50, s7
	v_add_co_ci_u32_e32 v53, vcc_lo, s6, v51, vcc_lo
	global_load_dwordx4 v[98:101], v[24:25], off offset:2016
	global_load_dwordx4 v[24:27], v[28:29], off
	global_load_dwordx4 v[109:112], v[30:31], off offset:1328
	global_load_dwordx4 v[28:31], v[32:33], off
	;; [unrolled: 2-line block ×7, first 2 shown]
	s_waitcnt vmcnt(23)
	v_mul_f64 v[54:55], v[2:3], v[80:81]
	v_mul_f64 v[56:57], v[0:1], v[80:81]
	s_waitcnt vmcnt(22)
	v_mul_f64 v[58:59], v[6:7], v[64:65]
	v_mul_f64 v[60:61], v[4:5], v[64:65]
	v_fma_f64 v[0:1], v[0:1], v[78:79], v[54:55]
	buffer_store_dword v78, off, s[60:63], 0 offset:124 ; 4-byte Folded Spill
	buffer_store_dword v79, off, s[60:63], 0 offset:128 ; 4-byte Folded Spill
	;; [unrolled: 1-line block ×4, first 2 shown]
	s_waitcnt vmcnt(20)
	v_mul_f64 v[54:55], v[10:11], v[72:73]
	v_fma_f64 v[4:5], v[4:5], v[62:63], v[58:59]
	buffer_store_dword v62, off, s[60:63], 0 offset:60 ; 4-byte Folded Spill
	buffer_store_dword v63, off, s[60:63], 0 offset:64 ; 4-byte Folded Spill
	;; [unrolled: 1-line block ×4, first 2 shown]
	s_waitcnt vmcnt(18)
	v_mul_f64 v[58:59], v[14:15], v[68:69]
	v_fma_f64 v[2:3], v[2:3], v[78:79], -v[56:57]
	v_mul_f64 v[56:57], v[8:9], v[72:73]
	v_fma_f64 v[8:9], v[8:9], v[70:71], v[54:55]
	v_fma_f64 v[6:7], v[6:7], v[62:63], -v[60:61]
	v_mul_f64 v[60:61], v[12:13], v[68:69]
	buffer_store_dword v70, off, s[60:63], 0 offset:92 ; 4-byte Folded Spill
	buffer_store_dword v71, off, s[60:63], 0 offset:96 ; 4-byte Folded Spill
	buffer_store_dword v72, off, s[60:63], 0 offset:100 ; 4-byte Folded Spill
	buffer_store_dword v73, off, s[60:63], 0 offset:104 ; 4-byte Folded Spill
	v_fma_f64 v[12:13], v[12:13], v[66:67], v[58:59]
	buffer_store_dword v66, off, s[60:63], 0 offset:76 ; 4-byte Folded Spill
	buffer_store_dword v67, off, s[60:63], 0 offset:80 ; 4-byte Folded Spill
	buffer_store_dword v68, off, s[60:63], 0 offset:84 ; 4-byte Folded Spill
	buffer_store_dword v69, off, s[60:63], 0 offset:88 ; 4-byte Folded Spill
	s_waitcnt vmcnt(16)
	v_mul_f64 v[54:55], v[18:19], v[84:85]
	s_waitcnt vmcnt(14)
	v_mul_f64 v[58:59], v[22:23], v[88:89]
	v_fma_f64 v[10:11], v[10:11], v[70:71], -v[56:57]
	v_mul_f64 v[56:57], v[16:17], v[84:85]
	v_fma_f64 v[14:15], v[14:15], v[66:67], -v[60:61]
	v_mul_f64 v[60:61], v[20:21], v[88:89]
	v_fma_f64 v[16:17], v[16:17], v[82:83], v[54:55]
	buffer_store_dword v82, off, s[60:63], 0 offset:140 ; 4-byte Folded Spill
	buffer_store_dword v83, off, s[60:63], 0 offset:144 ; 4-byte Folded Spill
	buffer_store_dword v84, off, s[60:63], 0 offset:148 ; 4-byte Folded Spill
	buffer_store_dword v85, off, s[60:63], 0 offset:152 ; 4-byte Folded Spill
	v_fma_f64 v[20:21], v[20:21], v[86:87], v[58:59]
	buffer_store_dword v86, off, s[60:63], 0 offset:156 ; 4-byte Folded Spill
	buffer_store_dword v87, off, s[60:63], 0 offset:160 ; 4-byte Folded Spill
	buffer_store_dword v88, off, s[60:63], 0 offset:164 ; 4-byte Folded Spill
	buffer_store_dword v89, off, s[60:63], 0 offset:168 ; 4-byte Folded Spill
	s_waitcnt vmcnt(12)
	v_mul_f64 v[54:55], v[26:27], v[100:101]
	s_waitcnt vmcnt(10)
	v_mul_f64 v[58:59], v[30:31], v[111:112]
	v_fma_f64 v[18:19], v[18:19], v[82:83], -v[56:57]
	v_mul_f64 v[56:57], v[24:25], v[100:101]
	v_fma_f64 v[22:23], v[22:23], v[86:87], -v[60:61]
	v_mul_f64 v[60:61], v[28:29], v[111:112]
	v_fma_f64 v[24:25], v[24:25], v[98:99], v[54:55]
	;; [unrolled: 18-line block ×4, first 2 shown]
	buffer_store_dword v90, off, s[60:63], 0 offset:172 ; 4-byte Folded Spill
	buffer_store_dword v91, off, s[60:63], 0 offset:176 ; 4-byte Folded Spill
	;; [unrolled: 1-line block ×4, first 2 shown]
	v_fma_f64 v[44:45], v[44:45], v[94:95], v[58:59]
	buffer_store_dword v94, off, s[60:63], 0 offset:188 ; 4-byte Folded Spill
	buffer_store_dword v95, off, s[60:63], 0 offset:192 ; 4-byte Folded Spill
	;; [unrolled: 1-line block ×4, first 2 shown]
	s_waitcnt vmcnt(0)
	v_mul_f64 v[54:55], v[50:51], v[104:105]
	v_add_co_u32 v58, vcc_lo, 0x4000, v162
	v_add_co_ci_u32_e32 v59, vcc_lo, 0, v163, vcc_lo
	global_load_dwordx4 v[62:65], v[58:59], off offset:1296
	v_fma_f64 v[42:43], v[42:43], v[90:91], -v[56:57]
	v_mul_f64 v[56:57], v[48:49], v[104:105]
	v_fma_f64 v[46:47], v[46:47], v[94:95], -v[60:61]
	v_add_co_u32 v60, vcc_lo, v52, s7
	v_add_co_ci_u32_e32 v61, vcc_lo, s6, v53, vcc_lo
	v_fma_f64 v[48:49], v[48:49], v[102:103], v[54:55]
	buffer_store_dword v102, off, s[60:63], 0 offset:220 ; 4-byte Folded Spill
	buffer_store_dword v103, off, s[60:63], 0 offset:224 ; 4-byte Folded Spill
	;; [unrolled: 1-line block ×4, first 2 shown]
	global_load_dwordx4 v[52:55], v[60:61], off
	v_add_co_u32 v60, vcc_lo, v60, s7
	v_add_co_ci_u32_e32 v61, vcc_lo, s6, v61, vcc_lo
	v_fma_f64 v[50:51], v[50:51], v[102:103], -v[56:57]
	s_waitcnt vmcnt(0)
	v_mul_f64 v[56:57], v[54:55], v[64:65]
	v_mul_f64 v[58:59], v[52:53], v[64:65]
	v_fma_f64 v[52:53], v[52:53], v[62:63], v[56:57]
	buffer_store_dword v62, off, s[60:63], 0 offset:268 ; 4-byte Folded Spill
	buffer_store_dword v63, off, s[60:63], 0 offset:272 ; 4-byte Folded Spill
	;; [unrolled: 1-line block ×4, first 2 shown]
	v_add_co_u32 v56, vcc_lo, 0x4800, v162
	v_add_co_ci_u32_e32 v57, vcc_lo, 0, v163, vcc_lo
	v_fma_f64 v[54:55], v[54:55], v[62:63], -v[58:59]
	s_clause 0x1
	global_load_dwordx4 v[66:69], v[56:57], off offset:608
	global_load_dwordx4 v[70:73], v[56:57], off offset:1968
	global_load_dwordx4 v[56:59], v[60:61], off
	s_waitcnt vmcnt(0)
	v_mul_f64 v[62:63], v[58:59], v[68:69]
	v_mul_f64 v[64:65], v[56:57], v[68:69]
	v_fma_f64 v[56:57], v[56:57], v[66:67], v[62:63]
	buffer_store_dword v66, off, s[60:63], 0 offset:284 ; 4-byte Folded Spill
	buffer_store_dword v67, off, s[60:63], 0 offset:288 ; 4-byte Folded Spill
	;; [unrolled: 1-line block ×4, first 2 shown]
	v_fma_f64 v[58:59], v[58:59], v[66:67], -v[64:65]
	v_add_co_u32 v64, vcc_lo, v60, s7
	v_add_co_ci_u32_e32 v65, vcc_lo, s6, v61, vcc_lo
	global_load_dwordx4 v[60:63], v[64:65], off
	v_add_co_u32 v64, vcc_lo, v64, s7
	v_add_co_ci_u32_e32 v65, vcc_lo, s6, v65, vcc_lo
	s_mov_b32 s6, 0x370991
	s_mov_b32 s7, 0x3fedd6d0
	s_waitcnt vmcnt(0)
	v_mul_f64 v[66:67], v[62:63], v[72:73]
	v_mul_f64 v[68:69], v[60:61], v[72:73]
	v_fma_f64 v[60:61], v[60:61], v[70:71], v[66:67]
	v_add_co_u32 v66, vcc_lo, 0x5000, v162
	v_add_co_ci_u32_e32 v67, vcc_lo, 0, v163, vcc_lo
	buffer_store_dword v70, off, s[60:63], 0 offset:300 ; 4-byte Folded Spill
	buffer_store_dword v71, off, s[60:63], 0 offset:304 ; 4-byte Folded Spill
	;; [unrolled: 1-line block ×4, first 2 shown]
	global_load_dwordx4 v[72:75], v[66:67], off offset:1280
	global_load_dwordx4 v[64:67], v[64:65], off
	v_cmp_gt_u16_e32 vcc_lo, 34, v108
	v_fma_f64 v[62:63], v[62:63], v[70:71], -v[68:69]
	s_waitcnt vmcnt(0)
	v_mul_f64 v[68:69], v[66:67], v[74:75]
	v_mul_f64 v[70:71], v[64:65], v[74:75]
	v_fma_f64 v[64:65], v[64:65], v[72:73], v[68:69]
	buffer_store_dword v72, off, s[60:63], 0 offset:316 ; 4-byte Folded Spill
	buffer_store_dword v73, off, s[60:63], 0 offset:320 ; 4-byte Folded Spill
	buffer_store_dword v74, off, s[60:63], 0 offset:324 ; 4-byte Folded Spill
	buffer_store_dword v75, off, s[60:63], 0 offset:328 ; 4-byte Folded Spill
	ds_write_b128 v160, v[0:3]
	ds_write_b128 v160, v[4:7] offset:1360
	ds_write_b128 v160, v[8:11] offset:2720
	;; [unrolled: 1-line block ×4, first 2 shown]
	s_load_dwordx4 s[8:11], s[10:11], 0x0
	v_fma_f64 v[66:67], v[66:67], v[72:73], -v[70:71]
	ds_write_b128 v160, v[20:23] offset:6800
	ds_write_b128 v160, v[24:27] offset:8160
	;; [unrolled: 1-line block ×12, first 2 shown]
	s_waitcnt lgkmcnt(0)
	s_waitcnt_vscnt null, 0x0
	s_barrier
	buffer_gl0_inv
	ds_read_b128 v[68:71], v160
	ds_read_b128 v[72:75], v160 offset:1360
	ds_read_b128 v[76:79], v160 offset:2720
	;; [unrolled: 1-line block ×11, first 2 shown]
	s_waitcnt lgkmcnt(10)
	v_add_f64 v[0:1], v[68:69], v[72:73]
	v_add_f64 v[2:3], v[70:71], v[74:75]
	s_waitcnt lgkmcnt(1)
	v_add_f64 v[32:33], v[96:97], -v[8:9]
	v_add_f64 v[34:35], v[98:99], -v[10:11]
	s_waitcnt lgkmcnt(0)
	v_add_f64 v[36:37], v[92:93], -v[12:13]
	v_add_f64 v[38:39], v[94:95], -v[14:15]
	v_add_f64 v[4:5], v[100:101], v[104:105]
	v_add_f64 v[6:7], v[102:103], v[106:107]
	v_add_f64 v[24:25], v[100:101], -v[104:105]
	v_add_f64 v[30:31], v[102:103], -v[106:107]
	v_add_f64 v[0:1], v[0:1], v[76:77]
	v_add_f64 v[2:3], v[2:3], v[78:79]
	v_add_f64 v[0:1], v[0:1], v[80:81]
	v_add_f64 v[2:3], v[2:3], v[82:83]
	v_add_f64 v[0:1], v[0:1], v[84:85]
	v_add_f64 v[2:3], v[2:3], v[86:87]
	v_add_f64 v[0:1], v[0:1], v[88:89]
	v_add_f64 v[2:3], v[2:3], v[90:91]
	v_add_f64 v[0:1], v[0:1], v[92:93]
	v_add_f64 v[2:3], v[2:3], v[94:95]
	v_add_f64 v[0:1], v[0:1], v[96:97]
	v_add_f64 v[2:3], v[2:3], v[98:99]
	v_add_f64 v[0:1], v[0:1], v[100:101]
	v_add_f64 v[2:3], v[2:3], v[102:103]
	v_add_f64 v[16:17], v[0:1], v[104:105]
	v_add_f64 v[18:19], v[2:3], v[106:107]
	v_add_f64 v[0:1], v[96:97], v[8:9]
	v_add_f64 v[2:3], v[98:99], v[10:11]
	v_add_f64 v[16:17], v[16:17], v[8:9]
	v_add_f64 v[18:19], v[18:19], v[10:11]
	v_add_f64 v[8:9], v[92:93], v[12:13]
	v_add_f64 v[10:11], v[94:95], v[14:15]
	v_add_f64 v[26:27], v[16:17], v[12:13]
	v_add_f64 v[28:29], v[18:19], v[14:15]
	ds_read_b128 v[16:19], v160 offset:16320
	ds_read_b128 v[20:23], v160 offset:17680
	s_waitcnt lgkmcnt(1)
	v_add_f64 v[12:13], v[88:89], v[16:17]
	v_add_f64 v[26:27], v[26:27], v[16:17]
	;; [unrolled: 1-line block ×4, first 2 shown]
	v_add_f64 v[40:41], v[88:89], -v[16:17]
	v_add_f64 v[46:47], v[90:91], -v[18:19]
	s_waitcnt lgkmcnt(0)
	v_add_f64 v[16:17], v[84:85], v[20:21]
	v_add_f64 v[18:19], v[86:87], v[22:23]
	v_add_f64 v[48:49], v[84:85], -v[20:21]
	v_add_f64 v[50:51], v[86:87], -v[22:23]
	v_add_f64 v[56:57], v[26:27], v[20:21]
	v_add_f64 v[58:59], v[28:29], v[22:23]
	ds_read_b128 v[26:29], v160 offset:19040
	ds_read_b128 v[42:45], v160 offset:20400
	s_waitcnt lgkmcnt(1)
	v_add_f64 v[20:21], v[80:81], v[26:27]
	v_add_f64 v[60:61], v[56:57], v[26:27]
	;; [unrolled: 1-line block ×4, first 2 shown]
	v_add_f64 v[52:53], v[80:81], -v[26:27]
	v_add_f64 v[54:55], v[82:83], -v[28:29]
	s_waitcnt lgkmcnt(0)
	v_add_f64 v[26:27], v[76:77], v[42:43]
	v_add_f64 v[28:29], v[78:79], v[44:45]
	v_add_f64 v[56:57], v[76:77], -v[42:43]
	v_add_f64 v[58:59], v[78:79], -v[44:45]
	v_add_f64 v[60:61], v[60:61], v[42:43]
	v_add_f64 v[62:63], v[62:63], v[44:45]
	ds_read_b128 v[42:45], v160 offset:21760
	s_waitcnt lgkmcnt(0)
	s_barrier
	buffer_gl0_inv
	v_add_f64 v[78:79], v[74:75], -v[44:45]
	v_add_f64 v[64:65], v[72:73], v[42:43]
	v_add_f64 v[66:67], v[74:75], v[44:45]
	v_add_f64 v[76:77], v[72:73], -v[42:43]
	v_add_f64 v[72:73], v[60:61], v[42:43]
	v_add_f64 v[74:75], v[62:63], v[44:45]
	v_mul_f64 v[42:43], v[78:79], s[30:31]
	v_mul_f64 v[44:45], v[78:79], s[38:39]
	;; [unrolled: 1-line block ×14, first 2 shown]
	v_fma_f64 v[86:87], v[64:65], s[6:7], -v[42:43]
	v_fma_f64 v[42:43], v[64:65], s[6:7], v[42:43]
	v_fma_f64 v[88:89], v[64:65], s[0:1], -v[44:45]
	v_fma_f64 v[44:45], v[64:65], s[0:1], v[44:45]
	;; [unrolled: 2-line block ×8, first 2 shown]
	v_mul_f64 v[64:65], v[76:77], s[30:31]
	v_mul_f64 v[76:77], v[76:77], s[34:35]
	v_fma_f64 v[119:120], v[66:67], s[16:17], v[102:103]
	v_fma_f64 v[102:103], v[66:67], s[16:17], -v[102:103]
	v_fma_f64 v[117:118], v[66:67], s[0:1], v[100:101]
	v_fma_f64 v[100:101], v[66:67], s[0:1], -v[100:101]
	;; [unrolled: 2-line block ×4, first 2 shown]
	v_fma_f64 v[125:126], v[66:67], s[20:21], v[111:112]
	v_add_f64 v[141:142], v[68:69], v[60:61]
	v_fma_f64 v[111:112], v[66:67], s[20:21], -v[111:112]
	v_fma_f64 v[127:128], v[66:67], s[22:23], v[113:114]
	v_fma_f64 v[113:114], v[66:67], s[22:23], -v[113:114]
	v_add_f64 v[86:87], v[68:69], v[86:87]
	v_add_f64 v[131:132], v[68:69], v[42:43]
	;; [unrolled: 1-line block ×7, first 2 shown]
	v_fma_f64 v[115:116], v[66:67], s[6:7], v[64:65]
	v_fma_f64 v[129:130], v[66:67], s[18:19], v[76:77]
	v_fma_f64 v[76:77], v[66:67], s[18:19], -v[76:77]
	v_fma_f64 v[64:65], v[66:67], s[6:7], -v[64:65]
	v_add_f64 v[143:144], v[70:71], v[102:103]
	v_add_f64 v[151:152], v[68:69], v[94:95]
	v_add_f64 v[153:154], v[68:69], v[80:81]
	v_add_f64 v[157:158], v[68:69], v[96:97]
	v_add_f64 v[102:103], v[68:69], v[82:83]
	v_add_f64 v[98:99], v[68:69], v[98:99]
	v_add_f64 v[42:43], v[68:69], v[84:85]
	v_add_f64 v[66:67], v[68:69], v[104:105]
	v_add_f64 v[62:63], v[68:69], v[78:79]
	v_mul_f64 v[80:81], v[54:55], s[42:43]
	v_mul_f64 v[78:79], v[56:57], s[38:39]
	v_add_f64 v[117:118], v[70:71], v[117:118]
	v_add_f64 v[137:138], v[70:71], v[100:101]
	;; [unrolled: 1-line block ×10, first 2 shown]
	v_mul_f64 v[76:77], v[58:59], s[38:39]
	v_add_f64 v[133:134], v[70:71], v[64:65]
	v_add_f64 v[100:101], v[70:71], v[111:112]
	;; [unrolled: 1-line block ×5, first 2 shown]
	v_fma_f64 v[82:83], v[20:21], s[16:17], -v[80:81]
	v_fma_f64 v[70:71], v[28:29], s[0:1], v[78:79]
	v_fma_f64 v[78:79], v[28:29], s[0:1], -v[78:79]
	v_fma_f64 v[80:81], v[20:21], s[16:17], v[80:81]
	;; [unrolled: 2-line block ×3, first 2 shown]
	v_add_f64 v[70:71], v[70:71], v[115:116]
	v_add_f64 v[78:79], v[78:79], v[133:134]
	;; [unrolled: 1-line block ×5, first 2 shown]
	v_mul_f64 v[82:83], v[52:53], s[42:43]
	v_add_f64 v[76:77], v[80:81], v[76:77]
	v_fma_f64 v[84:85], v[22:23], s[16:17], v[82:83]
	v_fma_f64 v[80:81], v[22:23], s[16:17], -v[82:83]
	v_add_f64 v[70:71], v[84:85], v[70:71]
	v_mul_f64 v[84:85], v[50:51], s[36:37]
	v_add_f64 v[78:79], v[80:81], v[78:79]
	v_fma_f64 v[86:87], v[16:17], s[14:15], -v[84:85]
	v_fma_f64 v[80:81], v[16:17], s[14:15], v[84:85]
	v_mul_f64 v[84:85], v[54:55], s[26:27]
	v_add_f64 v[68:69], v[86:87], v[68:69]
	v_mul_f64 v[86:87], v[48:49], s[36:37]
	v_add_f64 v[76:77], v[80:81], v[76:77]
	v_fma_f64 v[90:91], v[18:19], s[14:15], v[86:87]
	v_fma_f64 v[80:81], v[18:19], s[14:15], -v[86:87]
	v_fma_f64 v[86:87], v[20:21], s[20:21], -v[84:85]
	v_fma_f64 v[84:85], v[20:21], s[20:21], v[84:85]
	v_add_f64 v[70:71], v[90:91], v[70:71]
	v_mul_f64 v[90:91], v[46:47], s[24:25]
	v_add_f64 v[78:79], v[80:81], v[78:79]
	v_fma_f64 v[92:93], v[12:13], s[12:13], -v[90:91]
	v_fma_f64 v[80:81], v[12:13], s[12:13], v[90:91]
	v_add_f64 v[68:69], v[92:93], v[68:69]
	v_mul_f64 v[92:93], v[40:41], s[24:25]
	v_add_f64 v[76:77], v[80:81], v[76:77]
	v_fma_f64 v[94:95], v[14:15], s[12:13], v[92:93]
	v_fma_f64 v[80:81], v[14:15], s[12:13], -v[92:93]
	v_add_f64 v[70:71], v[94:95], v[70:71]
	v_mul_f64 v[94:95], v[38:39], s[26:27]
	v_add_f64 v[78:79], v[80:81], v[78:79]
	v_fma_f64 v[104:105], v[8:9], s[20:21], -v[94:95]
	v_fma_f64 v[80:81], v[8:9], s[20:21], v[94:95]
	v_add_f64 v[68:69], v[104:105], v[68:69]
	v_mul_f64 v[104:105], v[36:37], s[26:27]
	v_add_f64 v[76:77], v[80:81], v[76:77]
	v_fma_f64 v[106:107], v[10:11], s[20:21], v[104:105]
	v_fma_f64 v[80:81], v[10:11], s[20:21], -v[104:105]
	;; [unrolled: 10-line block ×3, first 2 shown]
	v_add_f64 v[70:71], v[111:112], v[70:71]
	v_mul_f64 v[111:112], v[30:31], s[34:35]
	v_add_f64 v[78:79], v[80:81], v[78:79]
	v_fma_f64 v[113:114], v[4:5], s[18:19], -v[111:112]
	v_fma_f64 v[80:81], v[4:5], s[18:19], v[111:112]
	v_add_f64 v[68:69], v[113:114], v[68:69]
	v_mul_f64 v[113:114], v[24:25], s[34:35]
	v_add_f64 v[92:93], v[80:81], v[76:77]
	v_mul_f64 v[80:81], v[58:59], s[36:37]
	v_fma_f64 v[82:83], v[6:7], s[18:19], -v[113:114]
	v_fma_f64 v[115:116], v[6:7], s[18:19], v[113:114]
	v_fma_f64 v[76:77], v[26:27], s[14:15], -v[80:81]
	v_fma_f64 v[80:81], v[26:27], s[14:15], v[80:81]
	v_add_f64 v[94:95], v[82:83], v[78:79]
	v_mul_f64 v[82:83], v[56:57], s[36:37]
	v_add_f64 v[76:77], v[76:77], v[88:89]
	v_add_f64 v[80:81], v[80:81], v[135:136]
	;; [unrolled: 1-line block ×3, first 2 shown]
	v_fma_f64 v[78:79], v[28:29], s[14:15], v[82:83]
	v_add_f64 v[76:77], v[86:87], v[76:77]
	v_mul_f64 v[86:87], v[52:53], s[26:27]
	v_fma_f64 v[82:83], v[28:29], s[14:15], -v[82:83]
	v_add_f64 v[80:81], v[84:85], v[80:81]
	v_add_f64 v[78:79], v[78:79], v[117:118]
	v_fma_f64 v[88:89], v[22:23], s[20:21], v[86:87]
	v_add_f64 v[82:83], v[82:83], v[137:138]
	v_fma_f64 v[84:85], v[22:23], s[20:21], -v[86:87]
	v_add_f64 v[78:79], v[88:89], v[78:79]
	v_mul_f64 v[88:89], v[50:51], s[34:35]
	v_add_f64 v[82:83], v[84:85], v[82:83]
	v_fma_f64 v[90:91], v[16:17], s[18:19], -v[88:89]
	v_fma_f64 v[84:85], v[16:17], s[18:19], v[88:89]
	v_add_f64 v[76:77], v[90:91], v[76:77]
	v_mul_f64 v[90:91], v[48:49], s[34:35]
	v_add_f64 v[80:81], v[84:85], v[80:81]
	v_fma_f64 v[104:105], v[18:19], s[18:19], v[90:91]
	v_fma_f64 v[84:85], v[18:19], s[18:19], -v[90:91]
	v_add_f64 v[78:79], v[104:105], v[78:79]
	v_mul_f64 v[104:105], v[46:47], s[50:51]
	v_add_f64 v[82:83], v[84:85], v[82:83]
	v_fma_f64 v[106:107], v[12:13], s[22:23], -v[104:105]
	v_fma_f64 v[84:85], v[12:13], s[22:23], v[104:105]
	v_mul_f64 v[104:105], v[54:55], s[46:47]
	v_add_f64 v[76:77], v[106:107], v[76:77]
	v_mul_f64 v[106:107], v[40:41], s[50:51]
	v_add_f64 v[80:81], v[84:85], v[80:81]
	v_fma_f64 v[109:110], v[14:15], s[22:23], v[106:107]
	v_fma_f64 v[84:85], v[14:15], s[22:23], -v[106:107]
	v_fma_f64 v[106:107], v[20:21], s[18:19], -v[104:105]
	v_fma_f64 v[104:105], v[20:21], s[18:19], v[104:105]
	v_add_f64 v[78:79], v[109:110], v[78:79]
	v_mul_f64 v[109:110], v[38:39], s[48:49]
	v_add_f64 v[82:83], v[84:85], v[82:83]
	v_fma_f64 v[111:112], v[8:9], s[12:13], -v[109:110]
	v_fma_f64 v[84:85], v[8:9], s[12:13], v[109:110]
	v_add_f64 v[76:77], v[111:112], v[76:77]
	v_mul_f64 v[111:112], v[36:37], s[48:49]
	v_add_f64 v[80:81], v[84:85], v[80:81]
	v_fma_f64 v[113:114], v[10:11], s[12:13], v[111:112]
	v_fma_f64 v[84:85], v[10:11], s[12:13], -v[111:112]
	v_add_f64 v[78:79], v[113:114], v[78:79]
	v_mul_f64 v[113:114], v[34:35], s[40:41]
	v_add_f64 v[82:83], v[84:85], v[82:83]
	v_fma_f64 v[115:116], v[0:1], s[16:17], -v[113:114]
	v_fma_f64 v[84:85], v[0:1], s[16:17], v[113:114]
	v_add_f64 v[76:77], v[115:116], v[76:77]
	v_mul_f64 v[115:116], v[32:33], s[40:41]
	v_add_f64 v[80:81], v[84:85], v[80:81]
	v_fma_f64 v[117:118], v[2:3], s[16:17], v[115:116]
	v_fma_f64 v[84:85], v[2:3], s[16:17], -v[115:116]
	v_add_f64 v[78:79], v[117:118], v[78:79]
	v_mul_f64 v[117:118], v[30:31], s[44:45]
	v_add_f64 v[82:83], v[84:85], v[82:83]
	v_fma_f64 v[127:128], v[4:5], s[6:7], -v[117:118]
	v_fma_f64 v[84:85], v[4:5], s[6:7], v[117:118]
	v_add_f64 v[76:77], v[127:128], v[76:77]
	v_mul_f64 v[127:128], v[24:25], s[44:45]
	v_add_f64 v[88:89], v[84:85], v[80:81]
	v_mul_f64 v[84:85], v[58:59], s[26:27]
	v_fma_f64 v[86:87], v[6:7], s[6:7], -v[127:128]
	v_fma_f64 v[129:130], v[6:7], s[6:7], v[127:128]
	v_fma_f64 v[80:81], v[26:27], s[20:21], -v[84:85]
	v_fma_f64 v[84:85], v[26:27], s[20:21], v[84:85]
	v_add_f64 v[90:91], v[86:87], v[82:83]
	v_mul_f64 v[86:87], v[56:57], s[26:27]
	v_add_f64 v[80:81], v[80:81], v[139:140]
	v_add_f64 v[84:85], v[84:85], v[141:142]
	;; [unrolled: 1-line block ×3, first 2 shown]
	v_fma_f64 v[82:83], v[28:29], s[20:21], v[86:87]
	v_add_f64 v[80:81], v[106:107], v[80:81]
	v_mul_f64 v[106:107], v[52:53], s[46:47]
	s_mov_b32 s47, 0x3fe58eea
	s_mov_b32 s46, s38
	v_fma_f64 v[86:87], v[28:29], s[20:21], -v[86:87]
	v_add_f64 v[84:85], v[104:105], v[84:85]
	v_add_f64 v[82:83], v[82:83], v[119:120]
	v_fma_f64 v[109:110], v[22:23], s[18:19], v[106:107]
	v_fma_f64 v[104:105], v[22:23], s[18:19], -v[106:107]
	v_add_f64 v[86:87], v[86:87], v[143:144]
	v_add_f64 v[82:83], v[109:110], v[82:83]
	v_mul_f64 v[109:110], v[50:51], s[48:49]
	v_add_f64 v[86:87], v[104:105], v[86:87]
	v_fma_f64 v[111:112], v[16:17], s[12:13], -v[109:110]
	v_fma_f64 v[104:105], v[16:17], s[12:13], v[109:110]
	v_mul_f64 v[109:110], v[58:59], s[34:35]
	v_add_f64 v[80:81], v[111:112], v[80:81]
	v_mul_f64 v[111:112], v[48:49], s[48:49]
	v_add_f64 v[84:85], v[104:105], v[84:85]
	v_fma_f64 v[113:114], v[18:19], s[12:13], v[111:112]
	v_fma_f64 v[104:105], v[18:19], s[12:13], -v[111:112]
	v_mul_f64 v[111:112], v[56:57], s[34:35]
	v_add_f64 v[82:83], v[113:114], v[82:83]
	v_mul_f64 v[113:114], v[46:47], s[46:47]
	v_add_f64 v[86:87], v[104:105], v[86:87]
	v_fma_f64 v[115:116], v[12:13], s[0:1], -v[113:114]
	v_fma_f64 v[104:105], v[12:13], s[0:1], v[113:114]
	v_mul_f64 v[113:114], v[54:55], s[48:49]
	v_add_f64 v[80:81], v[115:116], v[80:81]
	v_mul_f64 v[115:116], v[40:41], s[46:47]
	v_add_f64 v[84:85], v[104:105], v[84:85]
	v_fma_f64 v[117:118], v[14:15], s[0:1], v[115:116]
	v_fma_f64 v[104:105], v[14:15], s[0:1], -v[115:116]
	v_fma_f64 v[115:116], v[20:21], s[12:13], -v[113:114]
	v_fma_f64 v[113:114], v[20:21], s[12:13], v[113:114]
	v_add_f64 v[82:83], v[117:118], v[82:83]
	v_mul_f64 v[117:118], v[38:39], s[30:31]
	v_add_f64 v[86:87], v[104:105], v[86:87]
	v_fma_f64 v[119:120], v[8:9], s[6:7], -v[117:118]
	v_fma_f64 v[104:105], v[8:9], s[6:7], v[117:118]
	v_add_f64 v[80:81], v[119:120], v[80:81]
	v_mul_f64 v[119:120], v[36:37], s[30:31]
	v_add_f64 v[84:85], v[104:105], v[84:85]
	v_fma_f64 v[127:128], v[10:11], s[6:7], v[119:120]
	v_fma_f64 v[104:105], v[10:11], s[6:7], -v[119:120]
	v_add_f64 v[82:83], v[127:128], v[82:83]
	v_mul_f64 v[127:128], v[34:35], s[36:37]
	v_add_f64 v[86:87], v[104:105], v[86:87]
	v_fma_f64 v[129:130], v[0:1], s[14:15], -v[127:128]
	v_fma_f64 v[104:105], v[0:1], s[14:15], v[127:128]
	v_add_f64 v[80:81], v[129:130], v[80:81]
	v_mul_f64 v[129:130], v[32:33], s[36:37]
	v_add_f64 v[84:85], v[104:105], v[84:85]
	v_fma_f64 v[131:132], v[2:3], s[14:15], v[129:130]
	v_fma_f64 v[104:105], v[2:3], s[14:15], -v[129:130]
	v_add_f64 v[82:83], v[131:132], v[82:83]
	v_mul_f64 v[131:132], v[30:31], s[28:29]
	v_add_f64 v[86:87], v[104:105], v[86:87]
	v_fma_f64 v[133:134], v[4:5], s[22:23], -v[131:132]
	v_fma_f64 v[104:105], v[4:5], s[22:23], v[131:132]
	v_add_f64 v[80:81], v[133:134], v[80:81]
	v_mul_f64 v[133:134], v[24:25], s[28:29]
	v_add_f64 v[84:85], v[104:105], v[84:85]
	v_fma_f64 v[104:105], v[26:27], s[18:19], -v[109:110]
	v_fma_f64 v[109:110], v[26:27], s[18:19], v[109:110]
	v_fma_f64 v[106:107], v[6:7], s[22:23], -v[133:134]
	v_fma_f64 v[135:136], v[6:7], s[22:23], v[133:134]
	v_add_f64 v[104:105], v[104:105], v[145:146]
	v_add_f64 v[109:110], v[109:110], v[147:148]
	;; [unrolled: 1-line block ×3, first 2 shown]
	v_fma_f64 v[106:107], v[28:29], s[18:19], v[111:112]
	v_add_f64 v[104:105], v[115:116], v[104:105]
	v_mul_f64 v[115:116], v[52:53], s[48:49]
	v_fma_f64 v[111:112], v[28:29], s[18:19], -v[111:112]
	v_add_f64 v[109:110], v[113:114], v[109:110]
	v_add_f64 v[82:83], v[135:136], v[82:83]
	;; [unrolled: 1-line block ×3, first 2 shown]
	v_fma_f64 v[117:118], v[22:23], s[12:13], v[115:116]
	v_add_f64 v[111:112], v[111:112], v[149:150]
	v_fma_f64 v[113:114], v[22:23], s[12:13], -v[115:116]
	v_add_f64 v[106:107], v[117:118], v[106:107]
	v_mul_f64 v[117:118], v[50:51], s[44:45]
	v_add_f64 v[111:112], v[113:114], v[111:112]
	v_fma_f64 v[119:120], v[16:17], s[6:7], -v[117:118]
	v_fma_f64 v[113:114], v[16:17], s[6:7], v[117:118]
	v_mul_f64 v[117:118], v[58:59], s[50:51]
	v_add_f64 v[104:105], v[119:120], v[104:105]
	v_mul_f64 v[119:120], v[48:49], s[44:45]
	v_add_f64 v[109:110], v[113:114], v[109:110]
	v_fma_f64 v[121:122], v[18:19], s[6:7], v[119:120]
	v_fma_f64 v[113:114], v[18:19], s[6:7], -v[119:120]
	v_mul_f64 v[119:120], v[56:57], s[50:51]
	v_add_f64 v[106:107], v[121:122], v[106:107]
	v_mul_f64 v[121:122], v[46:47], s[42:43]
	v_add_f64 v[111:112], v[113:114], v[111:112]
	v_fma_f64 v[127:128], v[12:13], s[16:17], -v[121:122]
	v_fma_f64 v[113:114], v[12:13], s[16:17], v[121:122]
	v_mul_f64 v[121:122], v[54:55], s[46:47]
	v_add_f64 v[104:105], v[127:128], v[104:105]
	v_mul_f64 v[127:128], v[40:41], s[42:43]
	v_add_f64 v[109:110], v[113:114], v[109:110]
	v_fma_f64 v[129:130], v[14:15], s[16:17], v[127:128]
	v_fma_f64 v[113:114], v[14:15], s[16:17], -v[127:128]
	v_add_f64 v[106:107], v[129:130], v[106:107]
	v_mul_f64 v[129:130], v[38:39], s[28:29]
	v_add_f64 v[111:112], v[113:114], v[111:112]
	v_fma_f64 v[131:132], v[8:9], s[22:23], -v[129:130]
	v_fma_f64 v[113:114], v[8:9], s[22:23], v[129:130]
	v_add_f64 v[104:105], v[131:132], v[104:105]
	v_mul_f64 v[131:132], v[36:37], s[28:29]
	v_add_f64 v[109:110], v[113:114], v[109:110]
	v_fma_f64 v[133:134], v[10:11], s[22:23], v[131:132]
	v_fma_f64 v[113:114], v[10:11], s[22:23], -v[131:132]
	v_add_f64 v[106:107], v[133:134], v[106:107]
	v_mul_f64 v[133:134], v[34:35], s[52:53]
	v_add_f64 v[111:112], v[113:114], v[111:112]
	v_fma_f64 v[135:136], v[0:1], s[20:21], -v[133:134]
	v_fma_f64 v[113:114], v[0:1], s[20:21], v[133:134]
	;; [unrolled: 10-line block ×3, first 2 shown]
	v_add_f64 v[104:105], v[139:140], v[104:105]
	v_mul_f64 v[139:140], v[24:25], s[46:47]
	v_add_f64 v[109:110], v[113:114], v[109:110]
	v_fma_f64 v[113:114], v[26:27], s[22:23], -v[117:118]
	v_fma_f64 v[117:118], v[26:27], s[22:23], v[117:118]
	v_fma_f64 v[115:116], v[6:7], s[0:1], -v[139:140]
	v_fma_f64 v[141:142], v[6:7], s[0:1], v[139:140]
	v_add_f64 v[113:114], v[113:114], v[151:152]
	v_add_f64 v[117:118], v[117:118], v[153:154]
	;; [unrolled: 1-line block ×3, first 2 shown]
	v_fma_f64 v[115:116], v[28:29], s[22:23], v[119:120]
	v_fma_f64 v[119:120], v[28:29], s[22:23], -v[119:120]
	v_add_f64 v[106:107], v[141:142], v[106:107]
	v_add_f64 v[115:116], v[115:116], v[123:124]
	v_fma_f64 v[123:124], v[20:21], s[0:1], -v[121:122]
	v_fma_f64 v[121:122], v[20:21], s[0:1], v[121:122]
	v_add_f64 v[119:120], v[119:120], v[155:156]
	v_add_f64 v[113:114], v[123:124], v[113:114]
	v_mul_f64 v[123:124], v[52:53], s[46:47]
	v_add_f64 v[117:118], v[121:122], v[117:118]
	v_fma_f64 v[127:128], v[22:23], s[0:1], v[123:124]
	v_fma_f64 v[121:122], v[22:23], s[0:1], -v[123:124]
	v_add_f64 v[115:116], v[127:128], v[115:116]
	v_mul_f64 v[127:128], v[50:51], s[42:43]
	v_add_f64 v[119:120], v[121:122], v[119:120]
	v_fma_f64 v[129:130], v[16:17], s[16:17], -v[127:128]
	v_fma_f64 v[121:122], v[16:17], s[16:17], v[127:128]
	v_mul_f64 v[127:128], v[58:59], s[48:49]
	v_add_f64 v[113:114], v[129:130], v[113:114]
	v_mul_f64 v[129:130], v[48:49], s[42:43]
	s_mov_b32 s43, 0x3fefdd0d
	s_mov_b32 s42, s36
	v_add_f64 v[117:118], v[121:122], v[117:118]
	v_fma_f64 v[131:132], v[18:19], s[16:17], v[129:130]
	v_fma_f64 v[121:122], v[18:19], s[16:17], -v[129:130]
	v_mul_f64 v[129:130], v[56:57], s[48:49]
	v_add_f64 v[115:116], v[131:132], v[115:116]
	v_mul_f64 v[131:132], v[46:47], s[34:35]
	v_add_f64 v[119:120], v[121:122], v[119:120]
	v_fma_f64 v[133:134], v[12:13], s[18:19], -v[131:132]
	v_fma_f64 v[121:122], v[12:13], s[18:19], v[131:132]
	v_add_f64 v[113:114], v[133:134], v[113:114]
	v_mul_f64 v[133:134], v[40:41], s[34:35]
	v_add_f64 v[117:118], v[121:122], v[117:118]
	v_fma_f64 v[135:136], v[14:15], s[18:19], v[133:134]
	v_fma_f64 v[121:122], v[14:15], s[18:19], -v[133:134]
	v_add_f64 v[115:116], v[135:136], v[115:116]
	v_mul_f64 v[135:136], v[38:39], s[42:43]
	v_add_f64 v[119:120], v[121:122], v[119:120]
	v_fma_f64 v[137:138], v[8:9], s[14:15], -v[135:136]
	v_fma_f64 v[121:122], v[8:9], s[14:15], v[135:136]
	v_add_f64 v[113:114], v[137:138], v[113:114]
	v_mul_f64 v[137:138], v[36:37], s[42:43]
	v_add_f64 v[117:118], v[121:122], v[117:118]
	v_fma_f64 v[139:140], v[10:11], s[14:15], v[137:138]
	v_fma_f64 v[121:122], v[10:11], s[14:15], -v[137:138]
	;; [unrolled: 10-line block ×3, first 2 shown]
	v_add_f64 v[115:116], v[143:144], v[115:116]
	v_mul_f64 v[143:144], v[30:31], s[26:27]
	v_add_f64 v[119:120], v[121:122], v[119:120]
	v_fma_f64 v[145:146], v[4:5], s[20:21], -v[143:144]
	v_fma_f64 v[121:122], v[4:5], s[20:21], v[143:144]
	v_add_f64 v[113:114], v[145:146], v[113:114]
	v_mul_f64 v[145:146], v[24:25], s[26:27]
	v_add_f64 v[117:118], v[121:122], v[117:118]
	v_fma_f64 v[121:122], v[26:27], s[12:13], -v[127:128]
	v_fma_f64 v[127:128], v[26:27], s[12:13], v[127:128]
	v_fma_f64 v[123:124], v[6:7], s[20:21], -v[145:146]
	v_fma_f64 v[147:148], v[6:7], s[20:21], v[145:146]
	v_add_f64 v[121:122], v[121:122], v[157:158]
	v_add_f64 v[102:103], v[127:128], v[102:103]
	v_fma_f64 v[127:128], v[28:29], s[12:13], -v[129:130]
                                        ; implicit-def: $vgpr156_vgpr157
	v_add_f64 v[119:120], v[123:124], v[119:120]
	v_fma_f64 v[123:124], v[28:29], s[12:13], v[129:130]
	v_add_f64 v[115:116], v[147:148], v[115:116]
	v_add_f64 v[100:101], v[127:128], v[100:101]
	;; [unrolled: 1-line block ×3, first 2 shown]
	v_mul_f64 v[125:126], v[54:55], s[30:31]
	v_fma_f64 v[131:132], v[20:21], s[6:7], -v[125:126]
	v_fma_f64 v[125:126], v[20:21], s[6:7], v[125:126]
	v_add_f64 v[121:122], v[131:132], v[121:122]
	v_mul_f64 v[131:132], v[52:53], s[30:31]
	v_add_f64 v[102:103], v[125:126], v[102:103]
	v_fma_f64 v[133:134], v[22:23], s[6:7], v[131:132]
	v_fma_f64 v[125:126], v[22:23], s[6:7], -v[131:132]
	v_add_f64 v[123:124], v[133:134], v[123:124]
	v_mul_f64 v[133:134], v[50:51], s[28:29]
	v_add_f64 v[100:101], v[125:126], v[100:101]
	v_fma_f64 v[135:136], v[16:17], s[22:23], -v[133:134]
	v_fma_f64 v[125:126], v[16:17], s[22:23], v[133:134]
	v_add_f64 v[121:122], v[135:136], v[121:122]
	v_mul_f64 v[135:136], v[48:49], s[28:29]
	v_add_f64 v[102:103], v[125:126], v[102:103]
	v_fma_f64 v[137:138], v[18:19], s[22:23], v[135:136]
	v_fma_f64 v[125:126], v[18:19], s[22:23], -v[135:136]
	v_add_f64 v[123:124], v[137:138], v[123:124]
	v_mul_f64 v[137:138], v[46:47], s[42:43]
	v_add_f64 v[100:101], v[125:126], v[100:101]
	;; [unrolled: 10-line block ×5, first 2 shown]
	v_fma_f64 v[151:152], v[4:5], s[16:17], -v[149:150]
	v_fma_f64 v[100:101], v[4:5], s[16:17], v[149:150]
	v_add_f64 v[121:122], v[151:152], v[121:122]
	v_mul_f64 v[151:152], v[24:25], s[40:41]
	v_add_f64 v[100:101], v[100:101], v[102:103]
	v_fma_f64 v[127:128], v[6:7], s[16:17], -v[151:152]
	v_fma_f64 v[153:154], v[6:7], s[16:17], v[151:152]
	v_mul_f64 v[151:152], v[30:31], s[24:25]
	v_add_f64 v[102:103], v[127:128], v[125:126]
	v_mul_f64 v[125:126], v[58:59], s[40:41]
	v_add_f64 v[123:124], v[153:154], v[123:124]
	v_mul_f64 v[153:154], v[24:25], s[24:25]
	v_mul_f64 v[58:59], v[58:59], s[44:45]
	v_mul_f64 v[24:25], v[24:25], s[42:43]
	v_fma_f64 v[127:128], v[26:27], s[16:17], -v[125:126]
	v_add_f64 v[98:99], v[127:128], v[98:99]
	v_mul_f64 v[127:128], v[56:57], s[40:41]
	v_mul_f64 v[56:57], v[56:57], s[44:45]
	v_fma_f64 v[129:130], v[28:29], s[16:17], v[127:128]
	v_add_f64 v[96:97], v[129:130], v[96:97]
	v_mul_f64 v[129:130], v[54:55], s[36:37]
	v_mul_f64 v[54:55], v[54:55], s[28:29]
	v_fma_f64 v[131:132], v[20:21], s[14:15], -v[129:130]
	v_add_f64 v[98:99], v[131:132], v[98:99]
	v_mul_f64 v[131:132], v[52:53], s[36:37]
	v_mul_f64 v[52:53], v[52:53], s[28:29]
	v_fma_f64 v[133:134], v[22:23], s[14:15], v[131:132]
	v_add_f64 v[96:97], v[133:134], v[96:97]
	v_mul_f64 v[133:134], v[50:51], s[52:53]
	v_mul_f64 v[50:51], v[50:51], s[46:47]
	v_fma_f64 v[135:136], v[16:17], s[20:21], -v[133:134]
	v_add_f64 v[98:99], v[135:136], v[98:99]
	v_mul_f64 v[135:136], v[48:49], s[52:53]
	v_mul_f64 v[48:49], v[48:49], s[46:47]
	v_fma_f64 v[137:138], v[18:19], s[20:21], v[135:136]
	v_add_f64 v[96:97], v[137:138], v[96:97]
	v_mul_f64 v[137:138], v[46:47], s[30:31]
	v_mul_f64 v[46:47], v[46:47], s[26:27]
	v_fma_f64 v[139:140], v[12:13], s[6:7], -v[137:138]
	v_add_f64 v[98:99], v[139:140], v[98:99]
	v_mul_f64 v[139:140], v[40:41], s[30:31]
	v_mul_f64 v[40:41], v[40:41], s[26:27]
	v_fma_f64 v[141:142], v[14:15], s[6:7], v[139:140]
	v_add_f64 v[96:97], v[141:142], v[96:97]
	v_mul_f64 v[141:142], v[38:39], s[34:35]
	v_mul_f64 v[38:39], v[38:39], s[40:41]
	v_fma_f64 v[143:144], v[8:9], s[18:19], -v[141:142]
	v_add_f64 v[98:99], v[143:144], v[98:99]
	v_mul_f64 v[143:144], v[36:37], s[34:35]
	v_mul_f64 v[36:37], v[36:37], s[40:41]
	v_fma_f64 v[145:146], v[10:11], s[18:19], v[143:144]
	v_add_f64 v[96:97], v[145:146], v[96:97]
	v_mul_f64 v[145:146], v[34:35], s[46:47]
	v_mul_f64 v[34:35], v[34:35], s[24:25]
	v_fma_f64 v[147:148], v[0:1], s[0:1], -v[145:146]
	v_add_f64 v[98:99], v[147:148], v[98:99]
	v_mul_f64 v[147:148], v[32:33], s[46:47]
	v_fma_f64 v[149:150], v[2:3], s[0:1], v[147:148]
	v_add_f64 v[149:150], v[149:150], v[96:97]
	v_fma_f64 v[96:97], v[4:5], s[12:13], -v[151:152]
	v_add_f64 v[96:97], v[96:97], v[98:99]
	v_fma_f64 v[98:99], v[6:7], s[12:13], v[153:154]
	v_add_f64 v[98:99], v[98:99], v[149:150]
	v_fma_f64 v[149:150], v[26:27], s[6:7], -v[58:59]
	v_fma_f64 v[58:59], v[26:27], s[6:7], v[58:59]
	v_add_f64 v[66:67], v[149:150], v[66:67]
	v_fma_f64 v[149:150], v[28:29], s[6:7], v[56:57]
	v_add_f64 v[58:59], v[58:59], v[62:63]
	v_fma_f64 v[56:57], v[28:29], s[6:7], -v[56:57]
	v_add_f64 v[64:65], v[149:150], v[64:65]
	v_fma_f64 v[149:150], v[20:21], s[22:23], -v[54:55]
	v_fma_f64 v[54:55], v[20:21], s[22:23], v[54:55]
	v_add_f64 v[56:57], v[56:57], v[60:61]
	v_fma_f64 v[20:21], v[20:21], s[14:15], v[129:130]
	v_add_f64 v[66:67], v[149:150], v[66:67]
	v_fma_f64 v[149:150], v[22:23], s[22:23], v[52:53]
	v_add_f64 v[54:55], v[54:55], v[58:59]
	v_fma_f64 v[52:53], v[22:23], s[22:23], -v[52:53]
	v_fma_f64 v[22:23], v[22:23], s[14:15], -v[131:132]
	v_add_f64 v[64:65], v[149:150], v[64:65]
	v_fma_f64 v[149:150], v[16:17], s[0:1], -v[50:51]
	v_fma_f64 v[50:51], v[16:17], s[0:1], v[50:51]
	v_add_f64 v[52:53], v[52:53], v[56:57]
	v_fma_f64 v[16:17], v[16:17], s[20:21], v[133:134]
	v_add_f64 v[66:67], v[149:150], v[66:67]
	v_fma_f64 v[149:150], v[18:19], s[0:1], v[48:49]
	v_add_f64 v[50:51], v[50:51], v[54:55]
	v_fma_f64 v[48:49], v[18:19], s[0:1], -v[48:49]
	;; [unrolled: 10-line block ×4, first 2 shown]
	v_fma_f64 v[10:11], v[10:11], s[18:19], -v[143:144]
	v_add_f64 v[64:65], v[149:150], v[64:65]
	v_fma_f64 v[149:150], v[0:1], s[12:13], -v[34:35]
	v_fma_f64 v[34:35], v[0:1], s[12:13], v[34:35]
	v_add_f64 v[36:37], v[36:37], v[40:41]
	v_fma_f64 v[0:1], v[0:1], s[0:1], v[145:146]
	v_add_f64 v[66:67], v[149:150], v[66:67]
	v_mul_f64 v[149:150], v[32:33], s[24:25]
	v_add_f64 v[34:35], v[34:35], v[38:39]
	v_fma_f64 v[32:33], v[2:3], s[12:13], v[149:150]
	v_fma_f64 v[38:39], v[2:3], s[12:13], -v[149:150]
	v_fma_f64 v[2:3], v[2:3], s[0:1], -v[147:148]
	v_add_f64 v[32:33], v[32:33], v[64:65]
	v_mul_f64 v[64:65], v[30:31], s[42:43]
	v_add_f64 v[36:37], v[38:39], v[36:37]
	v_fma_f64 v[30:31], v[4:5], s[14:15], -v[64:65]
	v_fma_f64 v[38:39], v[4:5], s[14:15], v[64:65]
	v_add_f64 v[30:31], v[30:31], v[66:67]
	v_fma_f64 v[66:67], v[6:7], s[14:15], v[24:25]
	v_fma_f64 v[24:25], v[6:7], s[14:15], -v[24:25]
	v_add_f64 v[34:35], v[38:39], v[34:35]
	v_add_f64 v[32:33], v[66:67], v[32:33]
	;; [unrolled: 1-line block ×3, first 2 shown]
	v_fma_f64 v[24:25], v[26:27], s[16:17], v[125:126]
	v_fma_f64 v[26:27], v[28:29], s[16:17], -v[127:128]
	v_add_f64 v[24:25], v[24:25], v[42:43]
	v_add_f64 v[26:27], v[26:27], v[44:45]
	;; [unrolled: 1-line block ×12, first 2 shown]
	v_fma_f64 v[2:3], v[4:5], s[12:13], v[151:152]
	v_fma_f64 v[4:5], v[6:7], s[12:13], -v[153:154]
	v_add_f64 v[1:2], v[2:3], v[0:1]
	v_add_f64 v[3:4], v[4:5], v[8:9]
	v_mul_lo_u16 v5, v108, 17
	v_mov_b32_e32 v0, 4
	v_lshlrev_b32_sdwa v161, v0, v5 dst_sel:DWORD dst_unused:UNUSED_PAD src0_sel:DWORD src1_sel:WORD_0
	ds_write_b128 v161, v[72:75]
	ds_write_b128 v161, v[68:71] offset:16
	ds_write_b128 v161, v[76:79] offset:32
	;; [unrolled: 1-line block ×16, first 2 shown]
	s_waitcnt lgkmcnt(0)
	s_barrier
	buffer_gl0_inv
	ds_read_b128 v[104:107], v160
	ds_read_b128 v[100:103], v160 offset:1360
	ds_read_b128 v[144:147], v160 offset:9248
	;; [unrolled: 1-line block ×14, first 2 shown]
	s_and_saveexec_b32 s0, vcc_lo
	s_cbranch_execz .LBB0_3
; %bb.2:
	ds_read_b128 v[88:91], v160 offset:4080
	ds_read_b128 v[92:95], v160 offset:8704
	;; [unrolled: 1-line block ×5, first 2 shown]
.LBB0_3:
	s_or_b32 exec_lo, exec_lo, s0
	v_and_b32_e32 v1, 0xff, v196
	v_add_nc_u16 v2, v196, 0xff
	v_mov_b32_e32 v3, 0xf0f1
	v_add_nc_u16 v26, v196, 0x55
	s_mov_b32 s6, 0x134454ff
	v_mul_lo_u16 v1, 0xf1, v1
	s_mov_b32 s7, 0x3fee6f0e
	v_mul_u32_u24_sdwa v3, v2, v3 dst_sel:DWORD dst_unused:UNUSED_PAD src0_sel:WORD_0 src1_sel:DWORD
	s_mov_b32 s15, 0xbfee6f0e
	s_mov_b32 s14, s6
	v_lshrrev_b16 v24, 12, v1
	s_mov_b32 s0, 0x4755a5e
	v_lshrrev_b32_e32 v3, 20, v3
	s_mov_b32 s1, 0x3fe2cf23
	s_mov_b32 s13, 0xbfe2cf23
	v_mul_lo_u16 v1, v24, 17
	s_mov_b32 s12, s0
	s_mov_b32 s16, 0x372fe950
	;; [unrolled: 1-line block ×3, first 2 shown]
	v_sub_nc_u16 v1, v196, v1
	v_and_b32_e32 v25, 0xff, v1
	v_lshlrev_b32_e32 v1, 6, v25
	s_clause 0x3
	global_load_dwordx4 v[18:21], v1, s[2:3]
	global_load_dwordx4 v[192:195], v1, s[2:3] offset:16
	global_load_dwordx4 v[188:191], v1, s[2:3] offset:32
	;; [unrolled: 1-line block ×3, first 2 shown]
	v_mul_lo_u16 v1, v3, 17
	buffer_store_dword v3, off, s[60:63], 0 offset:332 ; 4-byte Folded Spill
	v_sub_nc_u16 v1, v2, v1
	buffer_store_dword v1, off, s[60:63], 0 offset:336 ; 4-byte Folded Spill
	v_lshlrev_b16 v1, 2, v1
	v_lshlrev_b32_sdwa v0, v0, v1 dst_sel:DWORD dst_unused:UNUSED_PAD src0_sel:DWORD src1_sel:WORD_0
	s_clause 0x3
	global_load_dwordx4 v[6:9], v0, s[2:3]
	global_load_dwordx4 v[10:13], v0, s[2:3] offset:16
	global_load_dwordx4 v[27:30], v0, s[2:3] offset:32
	;; [unrolled: 1-line block ×3, first 2 shown]
	s_waitcnt vmcnt(7) lgkmcnt(8)
	v_mul_f64 v[0:1], v[154:155], v[20:21]
	v_mul_f64 v[2:3], v[152:153], v[20:21]
	s_waitcnt vmcnt(6)
	v_mul_f64 v[4:5], v[146:147], v[194:195]
	v_fma_f64 v[16:17], v[152:153], v[18:19], -v[0:1]
	buffer_store_dword v18, off, s[60:63], 0 offset:340 ; 4-byte Folded Spill
	buffer_store_dword v19, off, s[60:63], 0 offset:344 ; 4-byte Folded Spill
	;; [unrolled: 1-line block ×4, first 2 shown]
	v_mul_f64 v[0:1], v[144:145], v[194:195]
	v_fma_f64 v[20:21], v[144:145], v[192:193], -v[4:5]
	s_waitcnt vmcnt(4)
	v_mul_f64 v[4:5], v[142:143], v[48:49]
	v_add_f64 v[86:87], v[104:105], v[16:17]
	v_fma_f64 v[22:23], v[146:147], v[192:193], v[0:1]
	s_waitcnt lgkmcnt(4)
	v_mul_f64 v[0:1], v[148:149], v[190:191]
	v_fma_f64 v[36:37], v[140:141], v[46:47], -v[4:5]
	s_waitcnt vmcnt(2) lgkmcnt(2)
	v_mul_f64 v[4:5], v[158:159], v[12:13]
	v_fma_f64 v[38:39], v[150:151], v[188:189], v[0:1]
	v_mul_f64 v[0:1], v[140:141], v[48:49]
	buffer_store_dword v46, off, s[60:63], 0 offset:508 ; 4-byte Folded Spill
	buffer_store_dword v47, off, s[60:63], 0 offset:512 ; 4-byte Folded Spill
	;; [unrolled: 1-line block ×4, first 2 shown]
	v_add_f64 v[66:67], v[16:17], -v[36:37]
	v_add_f64 v[48:49], v[22:23], -v[38:39]
	v_fma_f64 v[18:19], v[154:155], v[18:19], v[2:3]
	v_mul_f64 v[2:3], v[150:151], v[190:191]
	v_fma_f64 v[34:35], v[148:149], v[188:189], -v[2:3]
	v_mul_f64 v[2:3], v[94:95], v[8:9]
	v_add_f64 v[68:69], v[20:21], -v[34:35]
	v_fma_f64 v[2:3], v[92:93], v[6:7], -v[2:3]
	v_fma_f64 v[40:41], v[142:143], v[46:47], v[0:1]
	v_mul_f64 v[0:1], v[92:93], v[8:9]
	buffer_store_dword v6, off, s[60:63], 0 offset:768 ; 4-byte Folded Spill
	buffer_store_dword v7, off, s[60:63], 0 offset:772 ; 4-byte Folded Spill
	;; [unrolled: 1-line block ×4, first 2 shown]
	s_waitcnt vmcnt(1) lgkmcnt(1)
	v_mul_f64 v[8:9], v[166:167], v[29:30]
	v_add_f64 v[92:93], v[106:107], v[18:19]
	v_add_f64 v[46:47], v[18:19], -v[40:41]
	v_fma_f64 v[14:15], v[94:95], v[6:7], v[0:1]
	v_mul_f64 v[6:7], v[156:157], v[12:13]
	v_fma_f64 v[0:1], v[156:157], v[10:11], -v[4:5]
	buffer_store_dword v10, off, s[60:63], 0 offset:784 ; 4-byte Folded Spill
	buffer_store_dword v11, off, s[60:63], 0 offset:788 ; 4-byte Folded Spill
	;; [unrolled: 1-line block ×4, first 2 shown]
	s_waitcnt vmcnt(0) lgkmcnt(0)
	v_mul_f64 v[12:13], v[168:169], v[44:45]
	v_fma_f64 v[4:5], v[158:159], v[10:11], v[6:7]
	v_and_b32_e32 v6, 0xff, v26
	v_mul_f64 v[10:11], v[164:165], v[29:30]
	v_mul_lo_u16 v6, 0xf1, v6
	v_lshrrev_b16 v140, 12, v6
	v_fma_f64 v[6:7], v[164:165], v[27:28], -v[8:9]
	buffer_store_dword v27, off, s[60:63], 0 offset:800 ; 4-byte Folded Spill
	buffer_store_dword v28, off, s[60:63], 0 offset:804 ; 4-byte Folded Spill
	;; [unrolled: 1-line block ×4, first 2 shown]
	v_fma_f64 v[8:9], v[166:167], v[27:28], v[10:11]
	v_mul_f64 v[10:11], v[170:171], v[44:45]
	v_mul_lo_u16 v27, v140, 17
	v_sub_nc_u16 v26, v26, v27
	v_and_b32_e32 v141, 0xff, v26
	v_lshlrev_b32_e32 v28, 6, v141
	v_fma_f64 v[10:11], v[168:169], v[42:43], -v[10:11]
	buffer_store_dword v42, off, s[60:63], 0 offset:816 ; 4-byte Folded Spill
	buffer_store_dword v43, off, s[60:63], 0 offset:820 ; 4-byte Folded Spill
	buffer_store_dword v44, off, s[60:63], 0 offset:824 ; 4-byte Folded Spill
	buffer_store_dword v45, off, s[60:63], 0 offset:828 ; 4-byte Folded Spill
	s_clause 0x1
	global_load_dwordx4 v[176:179], v28, s[2:3]
	global_load_dwordx4 v[152:155], v28, s[2:3] offset:16
	v_fma_f64 v[12:13], v[170:171], v[42:43], v[12:13]
	s_clause 0x1
	global_load_dwordx4 v[164:167], v28, s[2:3] offset:32
	global_load_dwordx4 v[168:171], v28, s[2:3] offset:48
	s_waitcnt vmcnt(3)
	v_mul_f64 v[26:27], v[138:139], v[178:179]
	v_fma_f64 v[50:51], v[136:137], v[176:177], -v[26:27]
	v_mul_f64 v[26:27], v[136:137], v[178:179]
	v_fma_f64 v[52:53], v[138:139], v[176:177], v[26:27]
	s_waitcnt vmcnt(2)
	v_mul_f64 v[26:27], v[130:131], v[154:155]
	v_fma_f64 v[54:55], v[128:129], v[152:153], -v[26:27]
	v_mul_f64 v[26:27], v[128:129], v[154:155]
	v_fma_f64 v[56:57], v[130:131], v[152:153], v[26:27]
	s_waitcnt vmcnt(1)
	v_mul_f64 v[26:27], v[134:135], v[166:167]
	v_fma_f64 v[58:59], v[132:133], v[164:165], -v[26:27]
	v_mul_f64 v[26:27], v[132:133], v[166:167]
	v_add_f64 v[94:95], v[54:55], -v[58:59]
	v_fma_f64 v[60:61], v[134:135], v[164:165], v[26:27]
	s_waitcnt vmcnt(0)
	v_mul_f64 v[26:27], v[126:127], v[170:171]
	v_fma_f64 v[62:63], v[124:125], v[168:169], -v[26:27]
	v_mul_f64 v[26:27], v[124:125], v[170:171]
	v_fma_f64 v[64:65], v[126:127], v[168:169], v[26:27]
	v_add_nc_u16 v26, v196, 0xaa
	v_and_b32_e32 v27, 0xff, v26
	v_mul_lo_u16 v27, 0xf1, v27
	v_lshrrev_b16 v124, 12, v27
	v_mul_lo_u16 v27, v124, 17
	v_sub_nc_u16 v26, v26, v27
	v_and_b32_e32 v125, 0xff, v26
	v_lshlrev_b32_e32 v28, 6, v125
	s_clause 0x3
	global_load_dwordx4 v[180:183], v28, s[2:3]
	global_load_dwordx4 v[184:187], v28, s[2:3] offset:16
	global_load_dwordx4 v[172:175], v28, s[2:3] offset:32
	;; [unrolled: 1-line block ×3, first 2 shown]
	v_add_f64 v[28:29], v[36:37], -v[34:35]
	s_waitcnt vmcnt(3)
	v_mul_f64 v[26:27], v[122:123], v[182:183]
	v_fma_f64 v[70:71], v[120:121], v[180:181], -v[26:27]
	v_mul_f64 v[26:27], v[120:121], v[182:183]
	v_fma_f64 v[72:73], v[122:123], v[180:181], v[26:27]
	s_waitcnt vmcnt(2)
	v_mul_f64 v[26:27], v[118:119], v[186:187]
	v_fma_f64 v[74:75], v[116:117], v[184:185], -v[26:27]
	v_mul_f64 v[26:27], v[116:117], v[186:187]
	v_fma_f64 v[76:77], v[118:119], v[184:185], v[26:27]
	;; [unrolled: 5-line block ×4, first 2 shown]
	v_add_f64 v[26:27], v[16:17], -v[20:21]
	v_add_f64 v[30:31], v[26:27], v[28:29]
	v_add_f64 v[26:27], v[18:19], -v[22:23]
	v_add_f64 v[28:29], v[40:41], -v[38:39]
	v_add_f64 v[32:33], v[26:27], v[28:29]
	v_add_f64 v[26:27], v[20:21], v[34:35]
	v_fma_f64 v[42:43], v[26:27], -0.5, v[104:105]
	v_add_f64 v[26:27], v[22:23], v[38:39]
	v_fma_f64 v[44:45], v[26:27], -0.5, v[106:107]
	v_fma_f64 v[26:27], v[46:47], s[6:7], v[42:43]
	v_fma_f64 v[42:43], v[46:47], s[14:15], v[42:43]
	;; [unrolled: 1-line block ×10, first 2 shown]
	v_add_f64 v[42:43], v[16:17], v[36:37]
	v_add_f64 v[16:17], v[20:21], -v[16:17]
	v_add_f64 v[20:21], v[86:87], v[20:21]
	v_add_f64 v[86:87], v[92:93], v[22:23]
	v_fma_f64 v[28:29], v[32:33], s[16:17], v[28:29]
	v_fma_f64 v[32:33], v[32:33], s[16:17], v[44:45]
	v_add_f64 v[44:45], v[18:19], v[40:41]
	v_add_f64 v[18:19], v[22:23], -v[18:19]
	v_fma_f64 v[42:43], v[42:43], -0.5, v[104:105]
	v_add_f64 v[20:21], v[20:21], v[34:35]
	v_add_f64 v[22:23], v[86:87], v[38:39]
	v_add_f64 v[86:87], v[34:35], -v[36:37]
	v_fma_f64 v[44:45], v[44:45], -0.5, v[106:107]
	v_add_f64 v[34:35], v[20:21], v[36:37]
	v_add_f64 v[36:37], v[22:23], v[40:41]
	v_add_f64 v[20:21], v[38:39], -v[40:41]
	v_fma_f64 v[22:23], v[48:49], s[14:15], v[42:43]
	v_fma_f64 v[38:39], v[48:49], s[6:7], v[42:43]
	v_add_f64 v[16:17], v[16:17], v[86:87]
	v_fma_f64 v[40:41], v[68:69], s[6:7], v[44:45]
	v_fma_f64 v[42:43], v[68:69], s[14:15], v[44:45]
	v_add_f64 v[18:19], v[18:19], v[20:21]
	v_fma_f64 v[20:21], v[46:47], s[0:1], v[22:23]
	v_fma_f64 v[22:23], v[46:47], s[12:13], v[38:39]
	;; [unrolled: 1-line block ×6, first 2 shown]
	v_add_f64 v[16:17], v[0:1], -v[2:3]
	v_add_f64 v[22:23], v[2:3], -v[10:11]
	v_fma_f64 v[40:41], v[18:19], s[16:17], v[40:41]
	v_fma_f64 v[44:45], v[18:19], s[16:17], v[44:45]
	v_add_f64 v[18:19], v[6:7], -v[10:11]
	v_add_f64 v[46:47], v[16:17], v[18:19]
	v_add_f64 v[16:17], v[4:5], -v[14:15]
	v_add_f64 v[18:19], v[8:9], -v[12:13]
	v_add_f64 v[48:49], v[16:17], v[18:19]
	v_add_f64 v[16:17], v[2:3], v[10:11]
	v_add_f64 v[18:19], v[14:15], -v[12:13]
	v_fma_f64 v[66:67], v[16:17], -0.5, v[88:89]
	v_add_f64 v[16:17], v[14:15], v[12:13]
	v_fma_f64 v[68:69], v[16:17], -0.5, v[90:91]
	v_add_f64 v[16:17], v[4:5], -v[8:9]
	v_fma_f64 v[20:21], v[16:17], s[14:15], v[66:67]
	v_fma_f64 v[66:67], v[16:17], s[6:7], v[66:67]
	;; [unrolled: 1-line block ×3, first 2 shown]
	v_add_f64 v[20:21], v[0:1], -v[6:7]
	v_fma_f64 v[66:67], v[18:19], s[12:13], v[66:67]
	v_fma_f64 v[104:105], v[46:47], s[16:17], v[86:87]
	;; [unrolled: 1-line block ×5, first 2 shown]
	v_add_f64 v[86:87], v[56:57], -v[60:61]
	v_fma_f64 v[92:93], v[22:23], s[12:13], v[92:93]
	v_fma_f64 v[68:69], v[22:23], s[0:1], v[68:69]
	;; [unrolled: 1-line block ×4, first 2 shown]
	buffer_store_dword v104, off, s[60:63], 0 ; 4-byte Folded Spill
	buffer_store_dword v105, off, s[60:63], 0 offset:4 ; 4-byte Folded Spill
	buffer_store_dword v106, off, s[60:63], 0 offset:8 ; 4-byte Folded Spill
	;; [unrolled: 1-line block ×3, first 2 shown]
	v_mov_b32_e32 v106, 0x55
	buffer_store_dword v46, off, s[60:63], 0 offset:16 ; 4-byte Folded Spill
	buffer_store_dword v47, off, s[60:63], 0 offset:20 ; 4-byte Folded Spill
	;; [unrolled: 1-line block ×4, first 2 shown]
	s_waitcnt_vscnt null, 0x0
	s_barrier
	buffer_gl0_inv
	v_mul_u32_u24_sdwa v24, v24, v106 dst_sel:DWORD dst_unused:UNUSED_PAD src0_sel:WORD_0 src1_sel:DWORD
	v_add_f64 v[68:69], v[52:53], -v[64:65]
	v_add_f64 v[92:93], v[50:51], -v[62:63]
	;; [unrolled: 1-line block ×3, first 2 shown]
	v_add_lshl_u32 v107, v24, v25, 4
	v_add_f64 v[24:25], v[50:51], -v[54:55]
	ds_write_b128 v107, v[34:37]
	v_add_f64 v[34:35], v[62:63], -v[58:59]
	v_add_f64 v[36:37], v[64:65], -v[60:61]
	ds_write_b128 v107, v[26:29] offset:272
	ds_write_b128 v107, v[38:41] offset:544
	;; [unrolled: 1-line block ×3, first 2 shown]
	buffer_store_dword v107, off, s[60:63], 0 offset:500 ; 4-byte Folded Spill
	ds_write_b128 v107, v[30:33] offset:1088
	v_add_f64 v[26:27], v[4:5], v[8:9]
	v_add_f64 v[30:31], v[2:3], -v[0:1]
	v_add_f64 v[32:33], v[10:11], -v[6:7]
	v_add_f64 v[24:25], v[24:25], v[34:35]
	v_add_f64 v[34:35], v[52:53], -v[56:57]
	v_fma_f64 v[28:29], v[26:27], -0.5, v[90:91]
	v_add_f64 v[26:27], v[30:31], v[32:33]
	v_add_f64 v[30:31], v[12:13], -v[8:9]
	v_add_f64 v[48:49], v[34:35], v[36:37]
	v_add_f64 v[34:35], v[54:55], v[58:59]
	v_fma_f64 v[46:47], v[34:35], -0.5, v[100:101]
	v_add_f64 v[34:35], v[56:57], v[60:61]
	v_fma_f64 v[66:67], v[34:35], -0.5, v[102:103]
	v_fma_f64 v[34:35], v[68:69], s[6:7], v[46:47]
	v_fma_f64 v[46:47], v[68:69], s[14:15], v[46:47]
	;; [unrolled: 1-line block ×10, first 2 shown]
	v_add_f64 v[24:25], v[50:51], v[62:63]
	v_fma_f64 v[36:37], v[48:49], s[16:17], v[36:37]
	v_fma_f64 v[48:49], v[48:49], s[16:17], v[66:67]
	v_add_f64 v[66:67], v[52:53], v[64:65]
	v_fma_f64 v[24:25], v[24:25], -0.5, v[100:101]
	v_add_f64 v[100:101], v[100:101], v[50:51]
	v_fma_f64 v[66:67], v[66:67], -0.5, v[102:103]
	v_add_f64 v[102:103], v[102:103], v[52:53]
	v_add_f64 v[50:51], v[100:101], v[54:55]
	v_add_f64 v[100:101], v[74:75], -v[78:79]
	v_add_f64 v[54:55], v[102:103], v[56:57]
	v_add_f64 v[56:57], v[56:57], -v[52:53]
	;; [unrolled: 2-line block ×4, first 2 shown]
	v_add_f64 v[58:59], v[60:61], -v[64:65]
	v_fma_f64 v[60:61], v[86:87], s[14:15], v[24:25]
	v_fma_f64 v[24:25], v[86:87], s[6:7], v[24:25]
	v_add_f64 v[50:51], v[50:51], v[62:63]
	v_fma_f64 v[62:63], v[94:95], s[6:7], v[66:67]
	v_add_f64 v[52:53], v[52:53], v[64:65]
	;; [unrolled: 2-line block ×3, first 2 shown]
	v_add_f64 v[86:87], v[56:57], v[58:59]
	v_fma_f64 v[24:25], v[68:69], s[12:13], v[24:25]
	v_fma_f64 v[54:55], v[68:69], s[0:1], v[60:61]
	;; [unrolled: 1-line block ×3, first 2 shown]
	v_add_f64 v[62:63], v[78:79], -v[82:83]
	v_add_f64 v[94:95], v[72:73], -v[84:85]
	;; [unrolled: 1-line block ×3, first 2 shown]
	v_fma_f64 v[60:61], v[92:93], s[0:1], v[64:65]
	v_add_f64 v[64:65], v[80:81], -v[84:85]
	v_add_f64 v[92:93], v[76:77], -v[80:81]
	v_fma_f64 v[58:59], v[66:67], s[16:17], v[24:25]
	v_add_f64 v[24:25], v[74:75], -v[70:71]
	v_fma_f64 v[54:55], v[66:67], s[16:17], v[54:55]
	v_fma_f64 v[56:57], v[86:87], s[16:17], v[56:57]
	;; [unrolled: 1-line block ×3, first 2 shown]
	v_add_f64 v[24:25], v[24:25], v[62:63]
	v_add_f64 v[62:63], v[76:77], -v[72:73]
	v_add_f64 v[68:69], v[62:63], v[64:65]
	v_add_f64 v[62:63], v[70:71], v[82:83]
	v_fma_f64 v[66:67], v[62:63], -0.5, v[96:97]
	v_add_f64 v[62:63], v[72:73], v[84:85]
	v_fma_f64 v[86:87], v[62:63], -0.5, v[98:99]
	v_fma_f64 v[62:63], v[92:93], s[14:15], v[66:67]
	v_fma_f64 v[66:67], v[92:93], s[6:7], v[66:67]
	;; [unrolled: 1-line block ×10, first 2 shown]
	v_add_f64 v[24:25], v[74:75], v[78:79]
	v_fma_f64 v[64:65], v[68:69], s[16:17], v[64:65]
	v_fma_f64 v[68:69], v[68:69], s[16:17], v[86:87]
	v_add_f64 v[86:87], v[76:77], v[80:81]
	v_fma_f64 v[24:25], v[24:25], -0.5, v[96:97]
	v_add_f64 v[96:97], v[96:97], v[70:71]
	v_fma_f64 v[86:87], v[86:87], -0.5, v[98:99]
	v_add_f64 v[98:99], v[98:99], v[72:73]
	v_add_f64 v[70:71], v[96:97], v[74:75]
	;; [unrolled: 1-line block ×3, first 2 shown]
	v_add_f64 v[76:77], v[72:73], -v[76:77]
	v_add_f64 v[70:71], v[70:71], v[78:79]
	v_add_f64 v[72:73], v[74:75], v[80:81]
	v_add_f64 v[74:75], v[82:83], -v[78:79]
	v_add_f64 v[78:79], v[84:85], -v[80:81]
	v_fma_f64 v[80:81], v[94:95], s[6:7], v[24:25]
	v_fma_f64 v[24:25], v[94:95], s[14:15], v[24:25]
	v_add_f64 v[70:71], v[70:71], v[82:83]
	v_fma_f64 v[82:83], v[102:103], s[14:15], v[86:87]
	v_add_f64 v[72:73], v[72:73], v[84:85]
	;; [unrolled: 2-line block ×3, first 2 shown]
	v_add_f64 v[94:95], v[76:77], v[78:79]
	v_fma_f64 v[24:25], v[92:93], s[12:13], v[24:25]
	v_fma_f64 v[74:75], v[92:93], s[0:1], v[80:81]
	;; [unrolled: 1-line block ×5, first 2 shown]
	v_mul_u32_u24_sdwa v24, v140, v106 dst_sel:DWORD dst_unused:UNUSED_PAD src0_sel:WORD_0 src1_sel:DWORD
	v_fma_f64 v[74:75], v[86:87], s[16:17], v[74:75]
	v_fma_f64 v[76:77], v[94:95], s[16:17], v[76:77]
	v_add_lshl_u32 v24, v24, v141, 4
	ds_write_b128 v24, v[50:53]
	ds_write_b128 v24, v[34:37] offset:272
	ds_write_b128 v24, v[54:57] offset:544
	;; [unrolled: 1-line block ×3, first 2 shown]
	buffer_store_dword v24, off, s[60:63], 0 offset:524 ; 4-byte Folded Spill
	ds_write_b128 v24, v[46:49] offset:1088
	v_mul_u32_u24_sdwa v24, v124, v106 dst_sel:DWORD dst_unused:UNUSED_PAD src0_sel:WORD_0 src1_sel:DWORD
	v_add_f64 v[34:35], v[14:15], -v[4:5]
	v_fma_f64 v[36:37], v[22:23], s[6:7], v[28:29]
	v_add_lshl_u32 v38, v24, v125, 4
	v_add_f64 v[24:25], v[0:1], v[6:7]
	v_fma_f64 v[80:81], v[94:95], s[16:17], v[80:81]
	ds_write_b128 v38, v[70:73]
	ds_write_b128 v38, v[74:77] offset:272
	ds_write_b128 v38, v[62:65] offset:544
	;; [unrolled: 1-line block ×3, first 2 shown]
	v_add_f64 v[30:31], v[34:35], v[30:31]
	v_fma_f64 v[34:35], v[20:21], s[0:1], v[36:37]
	v_fma_f64 v[24:25], v[24:25], -0.5, v[88:89]
	v_fma_f64 v[34:35], v[30:31], s[16:17], v[34:35]
	v_fma_f64 v[32:33], v[18:19], s[14:15], v[24:25]
	;; [unrolled: 1-line block ×4, first 2 shown]
	buffer_store_dword v32, off, s[60:63], 0 offset:32 ; 4-byte Folded Spill
	buffer_store_dword v33, off, s[60:63], 0 offset:36 ; 4-byte Folded Spill
	;; [unrolled: 1-line block ×5, first 2 shown]
	ds_write_b128 v38, v[78:81] offset:1088
	s_and_saveexec_b32 s12, vcc_lo
	s_cbranch_execz .LBB0_5
; %bb.4:
	v_add_f64 v[14:15], v[90:91], v[14:15]
	v_add_f64 v[2:3], v[88:89], v[2:3]
	v_mul_f64 v[18:19], v[18:19], s[6:7]
	v_mul_f64 v[16:17], v[16:17], s[0:1]
	;; [unrolled: 1-line block ×4, first 2 shown]
	v_add_f64 v[4:5], v[14:15], v[4:5]
	v_add_f64 v[0:1], v[2:3], v[0:1]
	;; [unrolled: 1-line block ×3, first 2 shown]
	v_mul_f64 v[14:15], v[26:27], s[16:17]
	v_add_f64 v[22:23], v[28:29], -v[22:23]
	v_mul_f64 v[18:19], v[30:31], s[16:17]
	v_add_f64 v[4:5], v[4:5], v[8:9]
	v_add_f64 v[0:1], v[0:1], v[6:7]
	;; [unrolled: 1-line block ×3, first 2 shown]
	v_add_f64 v[20:21], v[22:23], -v[20:21]
	v_add_f64 v[6:7], v[4:5], v[12:13]
	v_add_f64 v[4:5], v[0:1], v[10:11]
	;; [unrolled: 1-line block ×3, first 2 shown]
	s_clause 0x1
	buffer_load_dword v8, off, s[60:63], 0 offset:332
	buffer_load_dword v9, off, s[60:63], 0 offset:336
	v_add_f64 v[2:3], v[18:19], v[20:21]
	s_waitcnt vmcnt(0)
	v_mad_u16 v8, 0x55, v8, v9
	v_mov_b32_e32 v9, 4
	v_lshlrev_b32_sdwa v8, v9, v8 dst_sel:DWORD dst_unused:UNUSED_PAD src0_sel:DWORD src1_sel:WORD_0
	s_clause 0x3
	buffer_load_dword v9, off, s[60:63], 0
	buffer_load_dword v10, off, s[60:63], 0 offset:4
	buffer_load_dword v11, off, s[60:63], 0 offset:8
	;; [unrolled: 1-line block ×3, first 2 shown]
	s_waitcnt vmcnt(0)
	ds_write_b128 v8, v[9:12] offset:544
	s_clause 0x3
	buffer_load_dword v9, off, s[60:63], 0 offset:16
	buffer_load_dword v10, off, s[60:63], 0 offset:20
	;; [unrolled: 1-line block ×4, first 2 shown]
	s_waitcnt vmcnt(0)
	ds_write_b128 v8, v[9:12] offset:816
	ds_write_b128 v8, v[4:7]
	ds_write_b128 v8, v[0:3] offset:272
	s_clause 0x3
	buffer_load_dword v0, off, s[60:63], 0 offset:32
	buffer_load_dword v1, off, s[60:63], 0 offset:36
	;; [unrolled: 1-line block ×4, first 2 shown]
	s_waitcnt vmcnt(0)
	ds_write_b128 v8, v[0:3] offset:1088
.LBB0_5:
	s_or_b32 exec_lo, exec_lo, s12
	v_lshlrev_b32_e32 v0, 8, v196
	buffer_store_dword v196, off, s[60:63], 0 offset:56 ; 4-byte Folded Spill
	s_waitcnt lgkmcnt(0)
	s_waitcnt_vscnt null, 0x0
	s_barrier
	buffer_gl0_inv
	s_clause 0xd
	global_load_dwordx4 v[132:135], v0, s[2:3] offset:1088
	global_load_dwordx4 v[88:91], v0, s[2:3] offset:1104
	;; [unrolled: 1-line block ×14, first 2 shown]
	ds_read_b128 v[1:4], v160 offset:1360
	ds_read_b128 v[5:8], v160 offset:2720
	;; [unrolled: 1-line block ×5, first 2 shown]
	ds_read_b128 v[21:24], v160
	ds_read_b128 v[25:28], v160 offset:8160
	ds_read_b128 v[29:32], v160 offset:9520
	;; [unrolled: 1-line block ×4, first 2 shown]
	s_mov_b32 s40, 0x5d8e7cdc
	s_mov_b32 s30, 0x2a9d6da3
	;; [unrolled: 1-line block ×42, first 2 shown]
	s_waitcnt vmcnt(13) lgkmcnt(9)
	v_mul_f64 v[41:42], v[3:4], v[134:135]
	s_waitcnt vmcnt(12) lgkmcnt(8)
	v_mul_f64 v[45:46], v[7:8], v[90:91]
	s_waitcnt vmcnt(11) lgkmcnt(7)
	v_mul_f64 v[49:50], v[11:12], v[74:75]
	v_mul_f64 v[47:48], v[5:6], v[90:91]
	v_mul_f64 v[51:52], v[9:10], v[74:75]
	;; [unrolled: 1-line block ×3, first 2 shown]
	s_waitcnt vmcnt(10) lgkmcnt(6)
	v_mul_f64 v[53:54], v[15:16], v[70:71]
	s_waitcnt vmcnt(9) lgkmcnt(5)
	v_mul_f64 v[57:58], v[19:20], v[86:87]
	;; [unrolled: 2-line block ×3, first 2 shown]
	v_mul_f64 v[55:56], v[13:14], v[70:71]
	v_mul_f64 v[59:60], v[17:18], v[86:87]
	v_fma_f64 v[64:65], v[1:2], v[132:133], -v[41:42]
	v_fma_f64 v[104:105], v[5:6], v[88:89], -v[45:46]
	buffer_store_dword v88, off, s[60:63], 0 offset:436 ; 4-byte Folded Spill
	buffer_store_dword v89, off, s[60:63], 0 offset:440 ; 4-byte Folded Spill
	;; [unrolled: 1-line block ×4, first 2 shown]
	v_fma_f64 v[108:109], v[9:10], v[72:73], -v[49:50]
	buffer_store_dword v72, off, s[60:63], 0 offset:372 ; 4-byte Folded Spill
	buffer_store_dword v73, off, s[60:63], 0 offset:376 ; 4-byte Folded Spill
	buffer_store_dword v74, off, s[60:63], 0 offset:380 ; 4-byte Folded Spill
	buffer_store_dword v75, off, s[60:63], 0 offset:384 ; 4-byte Folded Spill
	s_waitcnt vmcnt(7) lgkmcnt(2)
	v_mul_f64 v[9:10], v[31:32], v[78:79]
	v_fma_f64 v[66:67], v[3:4], v[132:133], v[43:44]
	v_fma_f64 v[112:113], v[13:14], v[68:69], -v[53:54]
	v_fma_f64 v[116:117], v[17:18], v[84:85], -v[57:58]
	v_mul_f64 v[41:42], v[25:26], v[82:83]
	v_fma_f64 v[120:121], v[25:26], v[80:81], -v[61:62]
	s_waitcnt vmcnt(6) lgkmcnt(1)
	v_mul_f64 v[13:14], v[35:36], v[94:95]
	s_waitcnt vmcnt(5) lgkmcnt(0)
	v_mul_f64 v[17:18], v[39:40], v[98:99]
	v_fma_f64 v[208:209], v[29:30], v[76:77], -v[9:10]
	v_fma_f64 v[250:251], v[33:34], v[92:93], -v[13:14]
	;; [unrolled: 1-line block ×3, first 2 shown]
	v_fma_f64 v[106:107], v[7:8], v[88:89], v[47:48]
	ds_read_b128 v[1:4], v160 offset:13600
	ds_read_b128 v[5:8], v160 offset:14960
	buffer_store_dword v68, off, s[60:63], 0 offset:356 ; 4-byte Folded Spill
	buffer_store_dword v69, off, s[60:63], 0 offset:360 ; 4-byte Folded Spill
	;; [unrolled: 1-line block ×8, first 2 shown]
	v_fma_f64 v[110:111], v[11:12], v[72:73], v[51:52]
	v_mul_f64 v[11:12], v[29:30], v[78:79]
	buffer_store_dword v80, off, s[60:63], 0 offset:404 ; 4-byte Folded Spill
	buffer_store_dword v81, off, s[60:63], 0 offset:408 ; 4-byte Folded Spill
	;; [unrolled: 1-line block ×8, first 2 shown]
	s_waitcnt vmcnt(4) lgkmcnt(1)
	v_mul_f64 v[25:26], v[3:4], v[102:103]
	s_waitcnt vmcnt(3) lgkmcnt(0)
	v_mul_f64 v[29:30], v[7:8], v[126:127]
	v_mul_f64 v[13:14], v[5:6], v[126:127]
	v_fma_f64 v[86:87], v[1:2], v[100:101], -v[25:26]
	v_fma_f64 v[114:115], v[15:16], v[68:69], v[55:56]
	v_fma_f64 v[118:119], v[19:20], v[84:85], v[59:60]
	v_mul_f64 v[15:16], v[33:34], v[94:95]
	v_mul_f64 v[19:20], v[37:38], v[98:99]
	buffer_store_dword v92, off, s[60:63], 0 offset:452 ; 4-byte Folded Spill
	buffer_store_dword v93, off, s[60:63], 0 offset:456 ; 4-byte Folded Spill
	;; [unrolled: 1-line block ×8, first 2 shown]
	v_fma_f64 v[122:123], v[27:28], v[80:81], v[41:42]
	v_fma_f64 v[254:255], v[31:32], v[76:77], v[11:12]
	v_mul_f64 v[27:28], v[1:2], v[102:103]
	ds_read_b128 v[9:12], v160 offset:16320
	buffer_store_dword v100, off, s[60:63], 0 offset:484 ; 4-byte Folded Spill
	buffer_store_dword v101, off, s[60:63], 0 offset:488 ; 4-byte Folded Spill
	;; [unrolled: 1-line block ×4, first 2 shown]
	v_fma_f64 v[58:59], v[5:6], v[124:125], -v[29:30]
	s_waitcnt vmcnt(2) lgkmcnt(0)
	v_mul_f64 v[5:6], v[9:10], v[130:131]
	v_fma_f64 v[252:253], v[35:36], v[92:93], v[15:16]
	v_mul_f64 v[15:16], v[11:12], v[130:131]
	v_fma_f64 v[236:237], v[39:40], v[96:97], v[19:20]
	v_fma_f64 v[62:63], v[3:4], v[100:101], v[27:28]
	ds_read_b128 v[1:4], v160 offset:17680
	buffer_store_dword v124, off, s[60:63], 0 offset:576 ; 4-byte Folded Spill
	buffer_store_dword v125, off, s[60:63], 0 offset:580 ; 4-byte Folded Spill
	;; [unrolled: 1-line block ×4, first 2 shown]
	v_fma_f64 v[16:17], v[9:10], v[128:129], -v[15:16]
	v_fma_f64 v[18:19], v[7:8], v[124:125], v[13:14]
	s_waitcnt vmcnt(1) lgkmcnt(0)
	v_mul_f64 v[7:8], v[3:4], v[146:147]
	v_fma_f64 v[14:15], v[11:12], v[128:129], v[5:6]
	v_mul_f64 v[5:6], v[1:2], v[146:147]
	v_mov_b32_e32 v10, v122
	v_mov_b32_e32 v11, v123
	;; [unrolled: 1-line block ×4, first 2 shown]
	v_fma_f64 v[12:13], v[1:2], v[144:145], -v[7:8]
	v_fma_f64 v[142:143], v[3:4], v[144:145], v[5:6]
	ds_read_b128 v[1:4], v160 offset:19040
	ds_read_b128 v[5:8], v160 offset:20400
	s_clause 0x1
	global_load_dwordx4 v[200:203], v0, s[2:3] offset:1312
	global_load_dwordx4 v[204:207], v0, s[2:3] offset:1328
	s_mov_b32 s2, 0xacd6c6b4
	s_mov_b32 s3, 0xbfc7851a
	;; [unrolled: 1-line block ×3, first 2 shown]
	s_waitcnt vmcnt(2) lgkmcnt(1)
	v_mul_f64 v[25:26], v[3:4], v[150:151]
	v_fma_f64 v[138:139], v[1:2], v[148:149], -v[25:26]
	v_mul_f64 v[1:2], v[1:2], v[150:151]
	v_fma_f64 v[42:43], v[3:4], v[148:149], v[1:2]
	s_waitcnt vmcnt(1) lgkmcnt(0)
	v_mul_f64 v[0:1], v[7:8], v[202:203]
	v_fma_f64 v[44:45], v[5:6], v[200:201], -v[0:1]
	v_mul_f64 v[0:1], v[5:6], v[202:203]
	v_fma_f64 v[46:47], v[7:8], v[200:201], v[0:1]
	ds_read_b128 v[0:3], v160 offset:21760
	v_add_f64 v[6:7], v[21:22], v[64:65]
	buffer_store_dword v6, off, s[60:63], 0 offset:632 ; 4-byte Folded Spill
	buffer_store_dword v7, off, s[60:63], 0 offset:636 ; 4-byte Folded Spill
	s_waitcnt vmcnt(0) lgkmcnt(0)
	v_mul_f64 v[4:5], v[2:3], v[206:207]
	v_add_f64 v[6:7], v[23:24], v[66:67]
	buffer_store_dword v6, off, s[60:63], 0 offset:640 ; 4-byte Folded Spill
	buffer_store_dword v7, off, s[60:63], 0 offset:644 ; 4-byte Folded Spill
	v_fma_f64 v[40:41], v[0:1], v[204:205], -v[4:5]
	v_mul_f64 v[0:1], v[0:1], v[206:207]
	v_add_f64 v[33:34], v[64:65], v[40:41]
	v_fma_f64 v[38:39], v[2:3], v[204:205], v[0:1]
	v_add_f64 v[0:1], v[66:67], -v[38:39]
	v_add_f64 v[84:85], v[66:67], v[38:39]
	v_mul_f64 v[2:3], v[0:1], s[40:41]
	v_mul_f64 v[4:5], v[0:1], s[30:31]
	;; [unrolled: 1-line block ×8, first 2 shown]
	v_fma_f64 v[35:36], v[33:34], s[38:39], -v[2:3]
	v_fma_f64 v[2:3], v[33:34], s[38:39], v[2:3]
	v_fma_f64 v[48:49], v[33:34], s[36:37], -v[4:5]
	v_fma_f64 v[4:5], v[33:34], s[36:37], v[4:5]
	;; [unrolled: 2-line block ×8, first 2 shown]
	v_add_f64 v[33:34], v[64:65], -v[40:41]
	v_add_f64 v[35:36], v[21:22], v[35:36]
	v_add_f64 v[2:3], v[21:22], v[2:3]
	buffer_store_dword v2, off, s[60:63], 0 offset:528 ; 4-byte Folded Spill
	buffer_store_dword v3, off, s[60:63], 0 offset:532 ; 4-byte Folded Spill
	v_mul_f64 v[70:71], v[33:34], s[40:41]
	v_mul_f64 v[80:81], v[33:34], s[14:15]
	;; [unrolled: 1-line block ×8, first 2 shown]
	v_add_f64 v[0:1], v[21:22], v[0:1]
	v_add_f64 v[234:235], v[21:22], v[52:53]
	;; [unrolled: 1-line block ×9, first 2 shown]
	v_fma_f64 v[88:89], v[84:85], s[38:39], v[70:71]
	v_fma_f64 v[70:71], v[84:85], s[38:39], -v[70:71]
	v_fma_f64 v[98:99], v[84:85], s[20:21], v[80:81]
	v_fma_f64 v[80:81], v[84:85], s[20:21], -v[80:81]
	;; [unrolled: 2-line block ×3, first 2 shown]
	v_fma_f64 v[94:95], v[84:85], s[28:29], v[76:77]
	v_fma_f64 v[102:103], v[84:85], s[12:13], v[33:34]
	v_fma_f64 v[33:34], v[84:85], s[12:13], -v[33:34]
	v_fma_f64 v[76:77], v[84:85], s[28:29], -v[76:77]
	v_fma_f64 v[96:97], v[84:85], s[24:25], v[78:79]
	v_fma_f64 v[78:79], v[84:85], s[24:25], -v[78:79]
	v_fma_f64 v[90:91], v[84:85], s[36:37], v[72:73]
	;; [unrolled: 2-line block ×3, first 2 shown]
	v_fma_f64 v[74:75], v[84:85], s[34:35], -v[74:75]
	v_add_f64 v[84:85], v[10:11], -v[18:19]
	v_add_f64 v[64:65], v[23:24], v[88:89]
	v_add_f64 v[2:3], v[23:24], v[70:71]
	buffer_store_dword v2, off, s[60:63], 0 offset:536 ; 4-byte Folded Spill
	buffer_store_dword v3, off, s[60:63], 0 offset:540 ; 4-byte Folded Spill
	v_add_f64 v[2:3], v[21:22], v[54:55]
	buffer_store_dword v2, off, s[60:63], 0 offset:696 ; 4-byte Folded Spill
	buffer_store_dword v3, off, s[60:63], 0 offset:700 ; 4-byte Folded Spill
	v_add_f64 v[2:3], v[21:22], v[29:30]
	buffer_store_dword v2, off, s[60:63], 0 offset:672 ; 4-byte Folded Spill
	buffer_store_dword v3, off, s[60:63], 0 offset:676 ; 4-byte Folded Spill
	v_add_f64 v[2:3], v[23:24], v[80:81]
	buffer_store_dword v2, off, s[60:63], 0 offset:664 ; 4-byte Folded Spill
	buffer_store_dword v3, off, s[60:63], 0 offset:668 ; 4-byte Folded Spill
	v_add_f64 v[2:3], v[21:22], v[60:61]
	buffer_store_dword v2, off, s[60:63], 0 offset:624 ; 4-byte Folded Spill
	buffer_store_dword v3, off, s[60:63], 0 offset:628 ; 4-byte Folded Spill
	v_add_f64 v[2:3], v[23:24], v[100:101]
	buffer_store_dword v2, off, s[60:63], 0 offset:616 ; 4-byte Folded Spill
	buffer_store_dword v3, off, s[60:63], 0 offset:620 ; 4-byte Folded Spill
	v_add_f64 v[2:3], v[21:22], v[31:32]
	buffer_store_dword v2, off, s[60:63], 0 offset:608 ; 4-byte Folded Spill
	buffer_store_dword v3, off, s[60:63], 0 offset:612 ; 4-byte Folded Spill
	v_add_f64 v[2:3], v[23:24], v[82:83]
	buffer_store_dword v2, off, s[60:63], 0 offset:600 ; 4-byte Folded Spill
	buffer_store_dword v3, off, s[60:63], 0 offset:604 ; 4-byte Folded Spill
	v_add_f64 v[2:3], v[21:22], v[68:69]
	buffer_store_dword v2, off, s[60:63], 0 offset:592 ; 4-byte Folded Spill
	buffer_store_dword v3, off, s[60:63], 0 offset:596 ; 4-byte Folded Spill
	v_add_f64 v[2:3], v[23:24], v[102:103]
	buffer_store_dword v2, off, s[60:63], 0 offset:680 ; 4-byte Folded Spill
	buffer_store_dword v3, off, s[60:63], 0 offset:684 ; 4-byte Folded Spill
	buffer_store_dword v0, off, s[60:63], 0 offset:568 ; 4-byte Folded Spill
	buffer_store_dword v1, off, s[60:63], 0 offset:572 ; 4-byte Folded Spill
	v_add_f64 v[0:1], v[23:24], v[33:34]
	buffer_store_dword v0, off, s[60:63], 0 offset:560 ; 4-byte Folded Spill
	buffer_store_dword v1, off, s[60:63], 0 offset:564 ; 4-byte Folded Spill
	;; [unrolled: 1-line block ×6, first 2 shown]
	v_add_f64 v[228:229], v[23:24], v[76:77]
	v_add_f64 v[246:247], v[23:24], v[78:79]
	;; [unrolled: 1-line block ×4, first 2 shown]
	v_mul_f64 v[82:83], v[84:85], s[14:15]
	v_add_f64 v[216:217], v[23:24], v[90:91]
	v_add_f64 v[220:221], v[23:24], v[92:93]
	v_add_f64 v[232:233], v[23:24], v[94:95]
	v_add_f64 v[240:241], v[23:24], v[96:97]
	v_add_f64 v[242:243], v[23:24], v[98:99]
	v_add_f64 v[30:31], v[254:255], -v[62:63]
	v_add_f64 v[32:33], v[124:125], -v[86:87]
	;; [unrolled: 1-line block ×6, first 2 shown]
	v_add_f64 v[8:9], v[106:107], v[46:47]
	v_add_f64 v[4:5], v[104:105], v[44:45]
	v_mul_f64 v[0:1], v[52:53], s[30:31]
	v_mul_f64 v[2:3], v[54:55], s[30:31]
	buffer_store_dword v0, off, s[60:63], 0 offset:544 ; 4-byte Folded Spill
	buffer_store_dword v1, off, s[60:63], 0 offset:548 ; 4-byte Folded Spill
	;; [unrolled: 1-line block ×8, first 2 shown]
	v_mul_f64 v[96:97], v[54:55], s[22:23]
	v_fma_f64 v[98:99], v[8:9], s[28:29], v[96:97]
	v_fma_f64 v[96:97], v[8:9], s[28:29], -v[96:97]
	v_add_f64 v[98:99], v[98:99], v[216:217]
	v_add_f64 v[96:97], v[96:97], v[212:213]
	v_fma_f64 v[0:1], v[4:5], s[36:37], -v[0:1]
	v_fma_f64 v[2:3], v[8:9], s[36:37], v[2:3]
	v_add_f64 v[60:61], v[110:111], v[42:43]
	v_add_f64 v[56:57], v[108:109], v[138:139]
	v_add_f64 v[66:67], v[108:109], -v[138:139]
	v_add_f64 v[0:1], v[0:1], v[35:36]
	v_add_f64 v[2:3], v[2:3], v[64:65]
	v_add_f64 v[64:65], v[110:111], -v[42:43]
	v_mul_f64 v[6:7], v[64:65], s[26:27]
	buffer_store_dword v6, off, s[60:63], 0 offset:688 ; 4-byte Folded Spill
	buffer_store_dword v7, off, s[60:63], 0 offset:692 ; 4-byte Folded Spill
	v_mul_f64 v[100:101], v[64:65], s[14:15]
	v_fma_f64 v[102:103], v[56:57], s[20:21], -v[100:101]
	v_fma_f64 v[20:21], v[56:57], s[34:35], -v[6:7]
	v_mul_f64 v[6:7], v[66:67], s[26:27]
	buffer_store_dword v6, off, s[60:63], 0 offset:704 ; 4-byte Folded Spill
	buffer_store_dword v7, off, s[60:63], 0 offset:708 ; 4-byte Folded Spill
	;; [unrolled: 1-line block ×4, first 2 shown]
	v_add_f64 v[0:1], v[20:21], v[0:1]
	buffer_store_dword v112, off, s[60:63], 0 offset:736 ; 4-byte Folded Spill
	buffer_store_dword v113, off, s[60:63], 0 offset:740 ; 4-byte Folded Spill
	v_fma_f64 v[20:21], v[60:61], s[34:35], v[6:7]
	v_add_f64 v[196:197], v[114:115], -v[142:143]
	v_add_f64 v[140:141], v[114:115], v[142:143]
	v_add_f64 v[136:137], v[112:113], v[12:13]
	v_add_f64 v[198:199], v[112:113], -v[12:13]
	v_mul_f64 v[112:113], v[84:85], s[46:47]
	v_add_f64 v[2:3], v[20:21], v[2:3]
	v_mul_f64 v[6:7], v[196:197], s[22:23]
	buffer_store_dword v6, off, s[60:63], 0 offset:712 ; 4-byte Folded Spill
	buffer_store_dword v7, off, s[60:63], 0 offset:716 ; 4-byte Folded Spill
	;; [unrolled: 1-line block ×6, first 2 shown]
	v_mul_f64 v[126:127], v[198:199], s[22:23]
	v_fma_f64 v[20:21], v[136:137], s[28:29], -v[6:7]
	v_add_f64 v[76:77], v[118:119], -v[14:15]
	v_add_f64 v[68:69], v[116:117], v[16:17]
	v_add_f64 v[78:79], v[116:117], -v[16:17]
	v_add_f64 v[72:73], v[118:119], v[14:15]
	v_mov_b32_e32 v6, v120
	v_mov_b32_e32 v7, v121
	v_mul_f64 v[116:117], v[30:31], s[42:43]
	v_mul_f64 v[120:121], v[88:89], s[44:45]
	v_add_f64 v[80:81], v[6:7], v[58:59]
	v_add_f64 v[0:1], v[20:21], v[0:1]
	v_fma_f64 v[20:21], v[140:141], s[28:29], v[126:127]
	v_mul_f64 v[70:71], v[76:77], s[18:19]
	v_mul_f64 v[74:75], v[78:79], s[18:19]
	;; [unrolled: 1-line block ×3, first 2 shown]
	v_fma_f64 v[114:115], v[80:81], s[24:25], -v[112:113]
	v_add_f64 v[2:3], v[20:21], v[2:3]
	v_fma_f64 v[20:21], v[68:69], s[24:25], -v[70:71]
	v_fma_f64 v[110:111], v[68:69], s[16:17], -v[108:109]
	v_add_f64 v[0:1], v[20:21], v[0:1]
	v_fma_f64 v[20:21], v[72:73], s[24:25], v[74:75]
	v_add_f64 v[22:23], v[20:21], v[2:3]
	v_fma_f64 v[2:3], v[80:81], s[20:21], -v[82:83]
	v_add_f64 v[20:21], v[6:7], -v[58:59]
	v_add_f64 v[26:27], v[2:3], v[0:1]
	v_add_f64 v[0:1], v[10:11], v[18:19]
	v_mul_f64 v[2:3], v[20:21], s[14:15]
	v_fma_f64 v[24:25], v[0:1], s[20:21], v[2:3]
	v_add_f64 v[34:35], v[24:25], v[22:23]
	v_add_f64 v[22:23], v[124:125], v[86:87]
	v_mul_f64 v[24:25], v[30:31], s[6:7]
	v_fma_f64 v[118:119], v[22:23], s[34:35], -v[116:117]
	v_fma_f64 v[28:29], v[22:23], s[16:17], -v[24:25]
	v_add_f64 v[48:49], v[28:29], v[26:27]
	v_add_f64 v[26:27], v[254:255], v[62:63]
	v_mul_f64 v[28:29], v[32:33], s[6:7]
	v_fma_f64 v[36:37], v[26:27], s[16:17], v[28:29]
	v_add_f64 v[92:93], v[36:37], v[34:35]
	v_add_f64 v[34:35], v[250:251], v[238:239]
	v_mul_f64 v[36:37], v[88:89], s[2:3]
	v_fma_f64 v[122:123], v[34:35], s[38:39], -v[120:121]
	v_fma_f64 v[50:51], v[34:35], s[12:13], -v[36:37]
	v_add_f64 v[208:209], v[50:51], v[48:49]
	v_add_f64 v[48:49], v[252:253], v[236:237]
	v_mul_f64 v[50:51], v[90:91], s[2:3]
	v_fma_f64 v[94:95], v[48:49], s[12:13], v[50:51]
	v_add_f64 v[210:211], v[94:95], v[92:93]
	v_mul_f64 v[92:93], v[52:53], s[22:23]
	v_fma_f64 v[94:95], v[4:5], s[28:29], -v[92:93]
	v_fma_f64 v[92:93], v[4:5], s[28:29], v[92:93]
	v_add_f64 v[94:95], v[94:95], v[218:219]
	v_add_f64 v[92:93], v[92:93], v[214:215]
	;; [unrolled: 1-line block ×3, first 2 shown]
	v_mul_f64 v[102:103], v[66:67], s[14:15]
	v_fma_f64 v[104:105], v[60:61], s[20:21], v[102:103]
	v_add_f64 v[98:99], v[104:105], v[98:99]
	v_mul_f64 v[104:105], v[196:197], s[2:3]
	v_fma_f64 v[106:107], v[136:137], s[12:13], -v[104:105]
	v_add_f64 v[94:95], v[106:107], v[94:95]
	v_mul_f64 v[106:107], v[198:199], s[2:3]
	v_add_f64 v[94:95], v[110:111], v[94:95]
	v_fma_f64 v[216:217], v[140:141], s[12:13], v[106:107]
	v_mul_f64 v[110:111], v[78:79], s[48:49]
	v_add_f64 v[94:95], v[114:115], v[94:95]
	v_add_f64 v[98:99], v[216:217], v[98:99]
	v_fma_f64 v[216:217], v[72:73], s[16:17], v[110:111]
	v_mul_f64 v[114:115], v[20:21], s[46:47]
	v_add_f64 v[94:95], v[118:119], v[94:95]
	v_mul_f64 v[118:119], v[32:33], s[42:43]
	v_add_f64 v[98:99], v[216:217], v[98:99]
	v_fma_f64 v[216:217], v[0:1], s[24:25], v[114:115]
	v_add_f64 v[98:99], v[216:217], v[98:99]
	v_fma_f64 v[216:217], v[26:27], s[34:35], v[118:119]
	v_add_f64 v[98:99], v[216:217], v[98:99]
	v_add_f64 v[216:217], v[122:123], v[94:95]
	v_mul_f64 v[94:95], v[90:91], s[44:45]
	v_fma_f64 v[122:123], v[48:49], s[38:39], v[94:95]
	v_fma_f64 v[94:95], v[48:49], s[38:39], -v[94:95]
	v_add_f64 v[218:219], v[122:123], v[98:99]
	v_fma_f64 v[98:99], v[56:57], s[20:21], v[100:101]
	v_mul_f64 v[100:101], v[64:65], s[52:53]
	v_add_f64 v[92:93], v[98:99], v[92:93]
	v_fma_f64 v[98:99], v[60:61], s[20:21], -v[102:103]
	v_fma_f64 v[102:103], v[56:57], s[12:13], -v[100:101]
	v_add_f64 v[96:97], v[98:99], v[96:97]
	v_fma_f64 v[98:99], v[136:137], s[12:13], v[104:105]
	v_add_f64 v[92:93], v[98:99], v[92:93]
	v_fma_f64 v[98:99], v[140:141], s[12:13], -v[106:107]
	v_add_f64 v[96:97], v[98:99], v[96:97]
	v_fma_f64 v[98:99], v[68:69], s[16:17], v[108:109]
	v_add_f64 v[92:93], v[98:99], v[92:93]
	;; [unrolled: 4-line block ×5, first 2 shown]
	v_add_f64 v[212:213], v[98:99], v[92:93]
	v_mul_f64 v[92:93], v[52:53], s[14:15]
	v_mul_f64 v[96:97], v[54:55], s[14:15]
	v_fma_f64 v[94:95], v[4:5], s[20:21], -v[92:93]
	v_fma_f64 v[98:99], v[8:9], s[20:21], v[96:97]
	v_fma_f64 v[92:93], v[4:5], s[20:21], v[92:93]
	v_fma_f64 v[96:97], v[8:9], s[20:21], -v[96:97]
	v_add_f64 v[94:95], v[94:95], v[222:223]
	v_add_f64 v[98:99], v[98:99], v[220:221]
	;; [unrolled: 1-line block ×5, first 2 shown]
	v_mul_f64 v[102:103], v[66:67], s[52:53]
	v_fma_f64 v[104:105], v[60:61], s[12:13], v[102:103]
	v_add_f64 v[98:99], v[104:105], v[98:99]
	v_mul_f64 v[104:105], v[196:197], s[46:47]
	v_fma_f64 v[106:107], v[136:137], s[24:25], -v[104:105]
	v_add_f64 v[94:95], v[106:107], v[94:95]
	v_mul_f64 v[106:107], v[198:199], s[46:47]
	v_fma_f64 v[108:109], v[140:141], s[24:25], v[106:107]
	v_add_f64 v[98:99], v[108:109], v[98:99]
	v_mul_f64 v[108:109], v[76:77], s[50:51]
	v_fma_f64 v[110:111], v[68:69], s[36:37], -v[108:109]
	v_add_f64 v[94:95], v[110:111], v[94:95]
	;; [unrolled: 6-line block ×5, first 2 shown]
	v_mul_f64 v[94:95], v[90:91], s[6:7]
	v_fma_f64 v[122:123], v[48:49], s[16:17], v[94:95]
	v_fma_f64 v[94:95], v[48:49], s[16:17], -v[94:95]
	v_add_f64 v[222:223], v[122:123], v[98:99]
	v_fma_f64 v[98:99], v[56:57], s[12:13], v[100:101]
	v_mul_f64 v[100:101], v[64:65], s[46:47]
	v_add_f64 v[92:93], v[98:99], v[92:93]
	v_fma_f64 v[98:99], v[60:61], s[12:13], -v[102:103]
	v_fma_f64 v[102:103], v[56:57], s[24:25], -v[100:101]
	v_add_f64 v[96:97], v[98:99], v[96:97]
	v_fma_f64 v[98:99], v[136:137], s[24:25], v[104:105]
	v_add_f64 v[92:93], v[98:99], v[92:93]
	v_fma_f64 v[98:99], v[140:141], s[24:25], -v[106:107]
	v_add_f64 v[96:97], v[98:99], v[96:97]
	v_fma_f64 v[98:99], v[68:69], s[36:37], v[108:109]
	v_add_f64 v[92:93], v[98:99], v[92:93]
	;; [unrolled: 4-line block ×5, first 2 shown]
	v_add_f64 v[224:225], v[98:99], v[92:93]
	v_mul_f64 v[92:93], v[52:53], s[2:3]
	v_mul_f64 v[96:97], v[54:55], s[2:3]
	v_fma_f64 v[94:95], v[4:5], s[12:13], -v[92:93]
	v_fma_f64 v[98:99], v[8:9], s[12:13], v[96:97]
	v_fma_f64 v[92:93], v[4:5], s[12:13], v[92:93]
	v_fma_f64 v[96:97], v[8:9], s[12:13], -v[96:97]
	v_add_f64 v[94:95], v[94:95], v[234:235]
	v_add_f64 v[98:99], v[98:99], v[232:233]
	;; [unrolled: 1-line block ×5, first 2 shown]
	v_mul_f64 v[102:103], v[66:67], s[46:47]
	v_fma_f64 v[104:105], v[60:61], s[24:25], v[102:103]
	v_add_f64 v[98:99], v[104:105], v[98:99]
	v_mul_f64 v[104:105], v[196:197], s[44:45]
	v_fma_f64 v[106:107], v[136:137], s[38:39], -v[104:105]
	v_add_f64 v[94:95], v[106:107], v[94:95]
	v_mul_f64 v[106:107], v[198:199], s[44:45]
	v_fma_f64 v[108:109], v[140:141], s[38:39], v[106:107]
	v_add_f64 v[98:99], v[108:109], v[98:99]
	v_mul_f64 v[108:109], v[76:77], s[26:27]
	v_fma_f64 v[110:111], v[68:69], s[34:35], -v[108:109]
	v_add_f64 v[94:95], v[110:111], v[94:95]
	;; [unrolled: 6-line block ×5, first 2 shown]
	v_mul_f64 v[94:95], v[90:91], s[50:51]
	v_fma_f64 v[122:123], v[48:49], s[36:37], v[94:95]
	v_fma_f64 v[94:95], v[48:49], s[36:37], -v[94:95]
	v_add_f64 v[234:235], v[122:123], v[98:99]
	v_fma_f64 v[98:99], v[56:57], s[24:25], v[100:101]
	v_mul_f64 v[100:101], v[64:65], s[50:51]
	v_add_f64 v[92:93], v[98:99], v[92:93]
	v_fma_f64 v[98:99], v[60:61], s[24:25], -v[102:103]
	v_fma_f64 v[102:103], v[56:57], s[36:37], -v[100:101]
	v_fma_f64 v[100:101], v[56:57], s[36:37], v[100:101]
	v_add_f64 v[96:97], v[98:99], v[96:97]
	v_fma_f64 v[98:99], v[136:137], s[38:39], v[104:105]
	v_add_f64 v[92:93], v[98:99], v[92:93]
	v_fma_f64 v[98:99], v[140:141], s[38:39], -v[106:107]
	v_add_f64 v[96:97], v[98:99], v[96:97]
	v_fma_f64 v[98:99], v[68:69], s[34:35], v[108:109]
	v_add_f64 v[92:93], v[98:99], v[92:93]
	v_fma_f64 v[98:99], v[72:73], s[34:35], -v[110:111]
	;; [unrolled: 4-line block ×4, first 2 shown]
	v_add_f64 v[96:97], v[98:99], v[96:97]
	v_fma_f64 v[98:99], v[34:35], s[36:37], v[120:121]
	v_add_f64 v[230:231], v[94:95], v[96:97]
	s_clause 0x1
	buffer_load_dword v94, off, s[60:63], 0 offset:696
	buffer_load_dword v95, off, s[60:63], 0 offset:700
	v_mul_f64 v[96:97], v[52:53], s[48:49]
	v_add_f64 v[228:229], v[98:99], v[92:93]
	v_mul_f64 v[98:99], v[54:55], s[48:49]
	v_fma_f64 v[92:93], v[4:5], s[16:17], -v[96:97]
	v_fma_f64 v[96:97], v[4:5], s[16:17], v[96:97]
	v_add_f64 v[96:97], v[96:97], v[248:249]
	v_add_f64 v[96:97], v[100:101], v[96:97]
	s_waitcnt vmcnt(0)
	v_add_f64 v[92:93], v[92:93], v[94:95]
	v_fma_f64 v[94:95], v[8:9], s[16:17], v[98:99]
	v_fma_f64 v[98:99], v[8:9], s[16:17], -v[98:99]
	v_add_f64 v[92:93], v[102:103], v[92:93]
	v_mul_f64 v[102:103], v[66:67], s[50:51]
	v_add_f64 v[94:95], v[94:95], v[240:241]
	v_add_f64 v[98:99], v[98:99], v[246:247]
	v_fma_f64 v[104:105], v[60:61], s[36:37], v[102:103]
	v_fma_f64 v[100:101], v[60:61], s[36:37], -v[102:103]
	v_add_f64 v[94:95], v[104:105], v[94:95]
	v_mul_f64 v[104:105], v[196:197], s[26:27]
	v_add_f64 v[98:99], v[100:101], v[98:99]
	v_fma_f64 v[106:107], v[136:137], s[34:35], -v[104:105]
	v_fma_f64 v[100:101], v[136:137], s[34:35], v[104:105]
	v_mul_f64 v[104:105], v[52:53], s[46:47]
	v_add_f64 v[92:93], v[106:107], v[92:93]
	v_mul_f64 v[106:107], v[198:199], s[26:27]
	v_add_f64 v[96:97], v[100:101], v[96:97]
	v_fma_f64 v[108:109], v[140:141], s[34:35], v[106:107]
	v_fma_f64 v[100:101], v[140:141], s[34:35], -v[106:107]
	v_mul_f64 v[106:107], v[54:55], s[46:47]
	v_add_f64 v[94:95], v[108:109], v[94:95]
	v_mul_f64 v[108:109], v[76:77], s[2:3]
	v_add_f64 v[98:99], v[100:101], v[98:99]
	v_fma_f64 v[110:111], v[68:69], s[12:13], -v[108:109]
	v_fma_f64 v[100:101], v[68:69], s[12:13], v[108:109]
	v_mul_f64 v[108:109], v[64:65], s[40:41]
	v_add_f64 v[92:93], v[110:111], v[92:93]
	v_mul_f64 v[110:111], v[78:79], s[2:3]
	v_add_f64 v[96:97], v[100:101], v[96:97]
	v_fma_f64 v[112:113], v[72:73], s[12:13], v[110:111]
	v_fma_f64 v[100:101], v[72:73], s[12:13], -v[110:111]
	v_fma_f64 v[110:111], v[56:57], s[38:39], -v[108:109]
	v_fma_f64 v[108:109], v[56:57], s[38:39], v[108:109]
	v_add_f64 v[94:95], v[112:113], v[94:95]
	v_mul_f64 v[112:113], v[84:85], s[54:55]
	v_add_f64 v[98:99], v[100:101], v[98:99]
	v_fma_f64 v[114:115], v[80:81], s[28:29], -v[112:113]
	v_fma_f64 v[100:101], v[80:81], s[28:29], v[112:113]
	v_add_f64 v[92:93], v[114:115], v[92:93]
	v_mul_f64 v[114:115], v[20:21], s[54:55]
	v_add_f64 v[96:97], v[100:101], v[96:97]
	v_fma_f64 v[116:117], v[0:1], s[28:29], v[114:115]
	v_fma_f64 v[100:101], v[0:1], s[28:29], -v[114:115]
	v_add_f64 v[94:95], v[116:117], v[94:95]
	v_mul_f64 v[116:117], v[30:31], s[40:41]
	v_add_f64 v[98:99], v[100:101], v[98:99]
	v_fma_f64 v[118:119], v[22:23], s[38:39], -v[116:117]
	v_fma_f64 v[100:101], v[22:23], s[38:39], v[116:117]
	v_add_f64 v[92:93], v[118:119], v[92:93]
	v_mul_f64 v[118:119], v[32:33], s[40:41]
	v_add_f64 v[96:97], v[100:101], v[96:97]
	v_fma_f64 v[120:121], v[26:27], s[38:39], v[118:119]
	v_fma_f64 v[100:101], v[26:27], s[38:39], -v[118:119]
	v_add_f64 v[94:95], v[120:121], v[94:95]
	v_mul_f64 v[120:121], v[88:89], s[14:15]
	v_add_f64 v[98:99], v[100:101], v[98:99]
	v_fma_f64 v[122:123], v[34:35], s[20:21], -v[120:121]
	v_fma_f64 v[100:101], v[34:35], s[20:21], v[120:121]
	v_add_f64 v[92:93], v[122:123], v[92:93]
	v_mul_f64 v[122:123], v[90:91], s[14:15]
	v_add_f64 v[96:97], v[100:101], v[96:97]
	v_fma_f64 v[100:101], v[4:5], s[24:25], -v[104:105]
	v_fma_f64 v[104:105], v[4:5], s[24:25], v[104:105]
	v_fma_f64 v[102:103], v[48:49], s[20:21], -v[122:123]
	v_fma_f64 v[240:241], v[48:49], s[20:21], v[122:123]
	v_add_f64 v[100:101], v[100:101], v[244:245]
	v_add_f64 v[98:99], v[102:103], v[98:99]
	v_fma_f64 v[102:103], v[8:9], s[24:25], v[106:107]
	v_add_f64 v[100:101], v[110:111], v[100:101]
	v_mul_f64 v[110:111], v[66:67], s[40:41]
	v_add_f64 v[94:95], v[240:241], v[94:95]
	v_fma_f64 v[106:107], v[8:9], s[24:25], -v[106:107]
	v_add_f64 v[102:103], v[102:103], v[242:243]
	v_fma_f64 v[112:113], v[60:61], s[38:39], v[110:111]
	v_add_f64 v[102:103], v[112:113], v[102:103]
	v_mul_f64 v[112:113], v[196:197], s[6:7]
	v_fma_f64 v[114:115], v[136:137], s[16:17], -v[112:113]
	v_add_f64 v[100:101], v[114:115], v[100:101]
	v_mul_f64 v[114:115], v[198:199], s[6:7]
	v_fma_f64 v[116:117], v[140:141], s[16:17], v[114:115]
	v_add_f64 v[102:103], v[116:117], v[102:103]
	v_mul_f64 v[116:117], v[76:77], s[54:55]
	v_fma_f64 v[118:119], v[68:69], s[28:29], -v[116:117]
	v_add_f64 v[100:101], v[118:119], v[100:101]
	v_mul_f64 v[118:119], v[78:79], s[54:55]
	;; [unrolled: 6-line block ×5, first 2 shown]
	v_fma_f64 v[248:249], v[48:49], s[34:35], v[246:247]
	v_add_f64 v[102:103], v[248:249], v[102:103]
	s_clause 0x1
	buffer_load_dword v248, off, s[60:63], 0 offset:672
	buffer_load_dword v249, off, s[60:63], 0 offset:676
	s_waitcnt vmcnt(0)
	v_add_f64 v[104:105], v[104:105], v[248:249]
	s_clause 0x1
	buffer_load_dword v248, off, s[60:63], 0 offset:664
	buffer_load_dword v249, off, s[60:63], 0 offset:668
	v_add_f64 v[104:105], v[108:109], v[104:105]
	v_fma_f64 v[108:109], v[60:61], s[38:39], -v[110:111]
	v_fma_f64 v[110:111], v[48:49], s[34:35], -v[246:247]
	s_waitcnt vmcnt(0)
	v_add_f64 v[106:107], v[106:107], v[248:249]
	v_add_f64 v[106:107], v[108:109], v[106:107]
	v_fma_f64 v[108:109], v[136:137], s[16:17], v[112:113]
	v_add_f64 v[104:105], v[108:109], v[104:105]
	v_fma_f64 v[108:109], v[140:141], s[16:17], -v[114:115]
	v_add_f64 v[106:107], v[108:109], v[106:107]
	v_fma_f64 v[108:109], v[68:69], s[28:29], v[116:117]
	v_add_f64 v[104:105], v[108:109], v[104:105]
	v_fma_f64 v[108:109], v[72:73], s[28:29], -v[118:119]
	v_add_f64 v[106:107], v[108:109], v[106:107]
	v_fma_f64 v[108:109], v[80:81], s[36:37], v[120:121]
	v_add_f64 v[104:105], v[108:109], v[104:105]
	v_fma_f64 v[108:109], v[0:1], s[36:37], -v[122:123]
	v_add_f64 v[106:107], v[108:109], v[106:107]
	v_fma_f64 v[108:109], v[22:23], s[12:13], v[240:241]
	v_add_f64 v[104:105], v[108:109], v[104:105]
	v_fma_f64 v[108:109], v[26:27], s[12:13], -v[242:243]
	v_add_f64 v[106:107], v[108:109], v[106:107]
	v_fma_f64 v[108:109], v[34:35], s[34:35], v[244:245]
	v_add_f64 v[106:107], v[110:111], v[106:107]
	v_add_f64 v[104:105], v[108:109], v[104:105]
	s_clause 0x3
	buffer_load_dword v108, off, s[60:63], 0 offset:632
	buffer_load_dword v109, off, s[60:63], 0 offset:636
	;; [unrolled: 1-line block ×4, first 2 shown]
	s_waitcnt vmcnt(0)
	v_add_f64 v[108:109], v[108:109], v[110:111]
	s_clause 0x3
	buffer_load_dword v110, off, s[60:63], 0 offset:640
	buffer_load_dword v111, off, s[60:63], 0 offset:644
	;; [unrolled: 1-line block ×4, first 2 shown]
	s_waitcnt vmcnt(0)
	v_add_f64 v[110:111], v[110:111], v[112:113]
	s_clause 0x1
	buffer_load_dword v112, off, s[60:63], 0 offset:720
	buffer_load_dword v113, off, s[60:63], 0 offset:724
	s_waitcnt vmcnt(0)
	v_add_f64 v[108:109], v[108:109], v[112:113]
	s_clause 0x1
	buffer_load_dword v112, off, s[60:63], 0 offset:728
	buffer_load_dword v113, off, s[60:63], 0 offset:732
	;; [unrolled: 5-line block ×6, first 2 shown]
	v_add_f64 v[108:109], v[108:109], v[6:7]
	v_mul_f64 v[6:7], v[52:53], s[42:43]
	v_add_f64 v[108:109], v[108:109], v[124:125]
	v_add_f64 v[108:109], v[108:109], v[250:251]
	;; [unrolled: 1-line block ×7, first 2 shown]
	s_clause 0x1
	buffer_load_dword v16, off, s[60:63], 0 offset:624
	buffer_load_dword v17, off, s[60:63], 0 offset:628
	v_add_f64 v[12:13], v[12:13], v[138:139]
	v_add_f64 v[12:13], v[12:13], v[44:45]
	s_waitcnt vmcnt(2)
	v_add_f64 v[110:111], v[110:111], v[112:113]
	v_add_f64 v[110:111], v[110:111], v[10:11]
	;; [unrolled: 1-line block ×8, first 2 shown]
	v_mul_f64 v[18:19], v[54:55], s[42:43]
	v_add_f64 v[10:11], v[14:15], v[142:143]
	v_add_f64 v[10:11], v[10:11], v[42:43]
	;; [unrolled: 1-line block ×5, first 2 shown]
	s_clause 0x1
	buffer_load_dword v38, off, s[60:63], 0 offset:616
	buffer_load_dword v39, off, s[60:63], 0 offset:620
	v_fma_f64 v[14:15], v[4:5], s[34:35], -v[6:7]
	v_fma_f64 v[6:7], v[4:5], s[34:35], v[6:7]
	s_waitcnt vmcnt(2)
	v_add_f64 v[14:15], v[14:15], v[16:17]
	v_fma_f64 v[16:17], v[8:9], s[34:35], v[18:19]
	v_fma_f64 v[18:19], v[8:9], s[34:35], -v[18:19]
	s_waitcnt vmcnt(0)
	v_add_f64 v[16:17], v[16:17], v[38:39]
	v_mul_f64 v[38:39], v[64:65], s[22:23]
	v_fma_f64 v[40:41], v[56:57], s[28:29], -v[38:39]
	v_fma_f64 v[38:39], v[56:57], s[28:29], v[38:39]
	v_add_f64 v[14:15], v[40:41], v[14:15]
	v_mul_f64 v[40:41], v[66:67], s[22:23]
	v_fma_f64 v[42:43], v[60:61], s[28:29], v[40:41]
	v_add_f64 v[16:17], v[42:43], v[16:17]
	v_mul_f64 v[42:43], v[196:197], s[56:57]
	v_fma_f64 v[44:45], v[136:137], s[20:21], -v[42:43]
	v_add_f64 v[14:15], v[44:45], v[14:15]
	v_mul_f64 v[44:45], v[198:199], s[56:57]
	v_fma_f64 v[46:47], v[140:141], s[20:21], v[44:45]
	v_add_f64 v[16:17], v[46:47], v[16:17]
	v_mul_f64 v[46:47], v[76:77], s[40:41]
	v_fma_f64 v[58:59], v[68:69], s[38:39], -v[46:47]
	v_add_f64 v[14:15], v[58:59], v[14:15]
	v_mul_f64 v[58:59], v[78:79], s[40:41]
	v_fma_f64 v[62:63], v[72:73], s[38:39], v[58:59]
	v_add_f64 v[16:17], v[62:63], v[16:17]
	v_mul_f64 v[62:63], v[84:85], s[2:3]
	v_fma_f64 v[86:87], v[80:81], s[12:13], -v[62:63]
	v_add_f64 v[14:15], v[86:87], v[14:15]
	v_mul_f64 v[86:87], v[20:21], s[2:3]
	v_fma_f64 v[108:109], v[0:1], s[12:13], v[86:87]
	v_add_f64 v[16:17], v[108:109], v[16:17]
	v_mul_f64 v[108:109], v[30:31], s[50:51]
	v_mul_f64 v[30:31], v[30:31], s[18:19]
	v_fma_f64 v[110:111], v[22:23], s[36:37], -v[108:109]
	v_add_f64 v[14:15], v[110:111], v[14:15]
	v_mul_f64 v[110:111], v[32:33], s[50:51]
	v_mul_f64 v[32:33], v[32:33], s[18:19]
	v_fma_f64 v[112:113], v[26:27], s[36:37], v[110:111]
	v_add_f64 v[16:17], v[112:113], v[16:17]
	v_mul_f64 v[112:113], v[88:89], s[18:19]
	v_fma_f64 v[114:115], v[34:35], s[24:25], -v[112:113]
	v_add_f64 v[14:15], v[114:115], v[14:15]
	v_mul_f64 v[114:115], v[90:91], s[18:19]
	v_fma_f64 v[116:117], v[48:49], s[24:25], v[114:115]
	v_add_f64 v[16:17], v[116:117], v[16:17]
	s_clause 0x1
	buffer_load_dword v116, off, s[60:63], 0 offset:608
	buffer_load_dword v117, off, s[60:63], 0 offset:612
	s_waitcnt vmcnt(0)
	v_add_f64 v[6:7], v[6:7], v[116:117]
	s_clause 0x1
	buffer_load_dword v116, off, s[60:63], 0 offset:600
	buffer_load_dword v117, off, s[60:63], 0 offset:604
	v_add_f64 v[6:7], v[38:39], v[6:7]
	v_fma_f64 v[38:39], v[60:61], s[28:29], -v[40:41]
	v_fma_f64 v[40:41], v[48:49], s[24:25], -v[114:115]
	s_waitcnt vmcnt(0)
	v_add_f64 v[18:19], v[18:19], v[116:117]
	v_add_f64 v[18:19], v[38:39], v[18:19]
	v_fma_f64 v[38:39], v[136:137], s[20:21], v[42:43]
	s_clause 0x1
	buffer_load_dword v42, off, s[60:63], 0 offset:592
	buffer_load_dword v43, off, s[60:63], 0 offset:596
	v_add_f64 v[6:7], v[38:39], v[6:7]
	v_fma_f64 v[38:39], v[140:141], s[20:21], -v[44:45]
	v_add_f64 v[18:19], v[38:39], v[18:19]
	v_fma_f64 v[38:39], v[68:69], s[38:39], v[46:47]
	s_clause 0x1
	buffer_load_dword v46, off, s[60:63], 0 offset:680
	buffer_load_dword v47, off, s[60:63], 0 offset:684
	v_add_f64 v[6:7], v[38:39], v[6:7]
	v_fma_f64 v[38:39], v[72:73], s[38:39], -v[58:59]
	v_add_f64 v[18:19], v[38:39], v[18:19]
	v_fma_f64 v[38:39], v[80:81], s[12:13], v[62:63]
	v_add_f64 v[6:7], v[38:39], v[6:7]
	v_fma_f64 v[38:39], v[0:1], s[12:13], -v[86:87]
	v_add_f64 v[18:19], v[38:39], v[18:19]
	v_fma_f64 v[38:39], v[22:23], s[36:37], v[108:109]
	;; [unrolled: 4-line block ×3, first 2 shown]
	v_add_f64 v[40:41], v[40:41], v[18:19]
	v_add_f64 v[38:39], v[38:39], v[6:7]
	v_mul_f64 v[6:7], v[52:53], s[44:45]
	v_fma_f64 v[18:19], v[4:5], s[38:39], -v[6:7]
	v_fma_f64 v[6:7], v[4:5], s[38:39], v[6:7]
	s_waitcnt vmcnt(2)
	v_add_f64 v[18:19], v[18:19], v[42:43]
	v_mul_f64 v[42:43], v[54:55], s[44:45]
	v_fma_f64 v[44:45], v[8:9], s[38:39], v[42:43]
	v_fma_f64 v[42:43], v[8:9], s[38:39], -v[42:43]
	s_waitcnt vmcnt(0)
	v_add_f64 v[44:45], v[44:45], v[46:47]
	v_mul_f64 v[46:47], v[64:65], s[6:7]
	v_fma_f64 v[52:53], v[56:57], s[16:17], -v[46:47]
	v_fma_f64 v[46:47], v[56:57], s[16:17], v[46:47]
	v_add_f64 v[18:19], v[52:53], v[18:19]
	v_mul_f64 v[52:53], v[66:67], s[6:7]
	v_fma_f64 v[54:55], v[60:61], s[16:17], v[52:53]
	v_add_f64 v[44:45], v[54:55], v[44:45]
	v_mul_f64 v[54:55], v[196:197], s[50:51]
	v_fma_f64 v[58:59], v[136:137], s[36:37], -v[54:55]
	v_add_f64 v[18:19], v[58:59], v[18:19]
	v_mul_f64 v[58:59], v[198:199], s[50:51]
	v_fma_f64 v[62:63], v[140:141], s[36:37], v[58:59]
	v_add_f64 v[44:45], v[62:63], v[44:45]
	v_mul_f64 v[62:63], v[76:77], s[14:15]
	v_fma_f64 v[64:65], v[68:69], s[20:21], -v[62:63]
	v_add_f64 v[18:19], v[64:65], v[18:19]
	v_mul_f64 v[64:65], v[78:79], s[14:15]
	v_mul_f64 v[78:79], v[90:91], s[54:55]
	v_fma_f64 v[66:67], v[72:73], s[20:21], v[64:65]
	v_add_f64 v[44:45], v[66:67], v[44:45]
	v_mul_f64 v[66:67], v[84:85], s[42:43]
	v_fma_f64 v[76:77], v[80:81], s[34:35], -v[66:67]
	v_add_f64 v[18:19], v[76:77], v[18:19]
	v_mul_f64 v[76:77], v[20:21], s[42:43]
	v_fma_f64 v[20:21], v[0:1], s[34:35], v[76:77]
	v_add_f64 v[20:21], v[20:21], v[44:45]
	v_fma_f64 v[44:45], v[22:23], s[24:25], -v[30:31]
	v_fma_f64 v[30:31], v[22:23], s[24:25], v[30:31]
	v_add_f64 v[18:19], v[44:45], v[18:19]
	v_fma_f64 v[44:45], v[26:27], s[24:25], v[32:33]
	v_add_f64 v[20:21], v[44:45], v[20:21]
	v_mul_f64 v[44:45], v[88:89], s[54:55]
	v_fma_f64 v[84:85], v[34:35], s[28:29], -v[44:45]
	v_add_f64 v[18:19], v[84:85], v[18:19]
	v_fma_f64 v[84:85], v[48:49], s[28:29], v[78:79]
	v_add_f64 v[20:21], v[84:85], v[20:21]
	s_clause 0x1
	buffer_load_dword v84, off, s[60:63], 0 offset:568
	buffer_load_dword v85, off, s[60:63], 0 offset:572
	s_waitcnt vmcnt(0)
	v_add_f64 v[6:7], v[6:7], v[84:85]
	s_clause 0x1
	buffer_load_dword v84, off, s[60:63], 0 offset:560
	buffer_load_dword v85, off, s[60:63], 0 offset:564
	v_add_f64 v[6:7], v[46:47], v[6:7]
	v_fma_f64 v[46:47], v[60:61], s[16:17], -v[52:53]
	s_waitcnt vmcnt(0)
	v_add_f64 v[42:43], v[42:43], v[84:85]
	v_add_f64 v[42:43], v[46:47], v[42:43]
	v_fma_f64 v[46:47], v[136:137], s[36:37], v[54:55]
	v_add_f64 v[6:7], v[46:47], v[6:7]
	v_fma_f64 v[46:47], v[140:141], s[36:37], -v[58:59]
	v_add_f64 v[42:43], v[46:47], v[42:43]
	v_fma_f64 v[46:47], v[68:69], s[20:21], v[62:63]
	v_add_f64 v[6:7], v[46:47], v[6:7]
	v_fma_f64 v[46:47], v[72:73], s[20:21], -v[64:65]
	;; [unrolled: 4-line block ×3, first 2 shown]
	v_fma_f64 v[0:1], v[0:1], s[20:21], -v[2:3]
	v_add_f64 v[6:7], v[30:31], v[6:7]
	v_add_f64 v[42:43], v[46:47], v[42:43]
	v_fma_f64 v[30:31], v[26:27], s[24:25], -v[32:33]
	v_add_f64 v[32:33], v[30:31], v[42:43]
	v_fma_f64 v[30:31], v[34:35], s[28:29], v[44:45]
	v_fma_f64 v[42:43], v[48:49], s[28:29], -v[78:79]
	v_add_f64 v[30:31], v[30:31], v[6:7]
	s_clause 0x1
	buffer_load_dword v6, off, s[60:63], 0 offset:544
	buffer_load_dword v7, off, s[60:63], 0 offset:548
	v_add_f64 v[32:33], v[42:43], v[32:33]
	s_waitcnt vmcnt(0)
	v_fma_f64 v[4:5], v[4:5], s[36:37], v[6:7]
	s_clause 0x1
	buffer_load_dword v6, off, s[60:63], 0 offset:552
	buffer_load_dword v7, off, s[60:63], 0 offset:556
	s_waitcnt vmcnt(0)
	v_fma_f64 v[6:7], v[8:9], s[36:37], -v[6:7]
	s_clause 0x1
	buffer_load_dword v8, off, s[60:63], 0 offset:528
	buffer_load_dword v9, off, s[60:63], 0 offset:532
	s_waitcnt vmcnt(0)
	v_add_f64 v[4:5], v[4:5], v[8:9]
	s_clause 0x1
	buffer_load_dword v8, off, s[60:63], 0 offset:536
	buffer_load_dword v9, off, s[60:63], 0 offset:540
	s_waitcnt vmcnt(0)
	v_add_f64 v[6:7], v[6:7], v[8:9]
	s_clause 0x3
	buffer_load_dword v8, off, s[60:63], 0 offset:688
	buffer_load_dword v9, off, s[60:63], 0 offset:692
	;; [unrolled: 1-line block ×4, first 2 shown]
	s_waitcnt vmcnt(2)
	v_fma_f64 v[8:9], v[56:57], s[34:35], v[8:9]
	s_waitcnt vmcnt(0)
	v_fma_f64 v[42:43], v[60:61], s[34:35], -v[42:43]
	v_add_f64 v[4:5], v[8:9], v[4:5]
	s_clause 0x1
	buffer_load_dword v8, off, s[60:63], 0 offset:712
	buffer_load_dword v9, off, s[60:63], 0 offset:716
	v_add_f64 v[6:7], v[42:43], v[6:7]
	v_fma_f64 v[42:43], v[140:141], s[28:29], -v[126:127]
	ds_write_b128 v160, v[10:13]
	ds_write_b128 v160, v[208:211] offset:1360
	ds_write_b128 v160, v[216:219] offset:2720
	;; [unrolled: 1-line block ×15, first 2 shown]
	v_add_f64 v[6:7], v[42:43], v[6:7]
	v_fma_f64 v[42:43], v[72:73], s[24:25], -v[74:75]
	v_add_f64 v[6:7], v[42:43], v[6:7]
	v_add_f64 v[0:1], v[0:1], v[6:7]
	v_fma_f64 v[6:7], v[26:27], s[16:17], -v[28:29]
	s_waitcnt vmcnt(0)
	v_fma_f64 v[8:9], v[136:137], s[28:29], v[8:9]
	v_add_f64 v[4:5], v[8:9], v[4:5]
	v_fma_f64 v[8:9], v[68:69], s[24:25], v[70:71]
	v_add_f64 v[4:5], v[8:9], v[4:5]
	;; [unrolled: 2-line block ×4, first 2 shown]
	v_add_f64 v[4:5], v[6:7], v[0:1]
	v_fma_f64 v[0:1], v[34:35], s[12:13], v[36:37]
	v_fma_f64 v[6:7], v[48:49], s[12:13], -v[50:51]
	v_add_f64 v[0:1], v[0:1], v[2:3]
	v_add_f64 v[2:3], v[6:7], v[4:5]
	v_add_co_u32 v4, s0, 0x5800, v162
	v_add_co_ci_u32_e64 v5, s0, 0, v163, s0
	ds_write_b128 v160, v[0:3] offset:21760
	s_waitcnt lgkmcnt(0)
	s_waitcnt_vscnt null, 0x0
	s_barrier
	buffer_gl0_inv
	global_load_dwordx4 v[0:3], v[4:5], off offset:592
	v_add_co_u32 v4, s0, 0x5a50, v162
	v_add_co_ci_u32_e64 v5, s0, 0, v163, s0
	v_add_co_u32 v8, s0, 0x6000, v162
	v_add_co_ci_u32_e64 v9, s0, 0, v163, s0
	global_load_dwordx4 v[4:7], v[4:5], off offset:1360
	v_add_co_u32 v16, s0, 0x6800, v162
	global_load_dwordx4 v[8:11], v[8:9], off offset:1264
	v_add_co_ci_u32_e64 v17, s0, 0, v163, s0
	s_clause 0x1
	global_load_dwordx4 v[12:15], v[16:17], off offset:576
	global_load_dwordx4 v[16:19], v[16:17], off offset:1936
	v_add_co_u32 v20, s0, 0x7000, v162
	v_add_co_ci_u32_e64 v21, s0, 0, v163, s0
	v_add_co_u32 v40, s0, 0x7800, v162
	v_add_co_ci_u32_e64 v41, s0, 0, v163, s0
	s_clause 0x1
	global_load_dwordx4 v[20:23], v[20:21], off offset:1248
	global_load_dwordx4 v[24:27], v[40:41], off offset:560
	ds_read_b128 v[28:31], v160
	ds_read_b128 v[32:35], v160 offset:1360
	ds_read_b128 v[36:39], v160 offset:2720
	s_waitcnt vmcnt(6) lgkmcnt(2)
	v_mul_f64 v[42:43], v[30:31], v[2:3]
	v_mul_f64 v[2:3], v[28:29], v[2:3]
	s_waitcnt vmcnt(5) lgkmcnt(1)
	v_mul_f64 v[44:45], v[34:35], v[6:7]
	v_mul_f64 v[6:7], v[32:33], v[6:7]
	v_fma_f64 v[208:209], v[28:29], v[0:1], -v[42:43]
	v_fma_f64 v[210:211], v[30:31], v[0:1], v[2:3]
	ds_read_b128 v[0:3], v160 offset:4080
	s_waitcnt vmcnt(4) lgkmcnt(1)
	v_mul_f64 v[28:29], v[38:39], v[10:11]
	v_mul_f64 v[10:11], v[36:37], v[10:11]
	v_fma_f64 v[212:213], v[32:33], v[4:5], -v[44:45]
	v_fma_f64 v[214:215], v[34:35], v[4:5], v[6:7]
	ds_read_b128 v[4:7], v160 offset:5440
	s_waitcnt vmcnt(3) lgkmcnt(1)
	v_mul_f64 v[32:33], v[2:3], v[14:15]
	v_mul_f64 v[14:15], v[0:1], v[14:15]
	v_fma_f64 v[216:217], v[36:37], v[8:9], -v[28:29]
	global_load_dwordx4 v[28:31], v[40:41], off offset:1920
	v_fma_f64 v[218:219], v[38:39], v[8:9], v[10:11]
	ds_read_b128 v[8:11], v160 offset:6800
	s_waitcnt vmcnt(3) lgkmcnt(1)
	v_mul_f64 v[34:35], v[6:7], v[18:19]
	v_mul_f64 v[18:19], v[4:5], v[18:19]
	v_fma_f64 v[220:221], v[0:1], v[12:13], -v[32:33]
	v_fma_f64 v[222:223], v[2:3], v[12:13], v[14:15]
	ds_read_b128 v[0:3], v160 offset:8160
	v_add_co_u32 v12, s0, 0x8000, v162
	s_waitcnt vmcnt(2) lgkmcnt(1)
	v_mul_f64 v[32:33], v[10:11], v[22:23]
	v_add_co_ci_u32_e64 v13, s0, 0, v163, s0
	v_mul_f64 v[22:23], v[8:9], v[22:23]
	v_fma_f64 v[224:225], v[4:5], v[16:17], -v[34:35]
	v_fma_f64 v[226:227], v[6:7], v[16:17], v[18:19]
	ds_read_b128 v[4:7], v160 offset:9520
	global_load_dwordx4 v[12:15], v[12:13], off offset:1232
	s_waitcnt vmcnt(2) lgkmcnt(1)
	v_mul_f64 v[16:17], v[2:3], v[26:27]
	v_mul_f64 v[18:19], v[0:1], v[26:27]
	v_fma_f64 v[8:9], v[8:9], v[20:21], -v[32:33]
	v_add_co_u32 v32, s0, 0x8800, v162
	v_add_co_ci_u32_e64 v33, s0, 0, v163, s0
	v_fma_f64 v[10:11], v[10:11], v[20:21], v[22:23]
	v_fma_f64 v[0:1], v[0:1], v[24:25], -v[16:17]
	v_fma_f64 v[2:3], v[2:3], v[24:25], v[18:19]
	global_load_dwordx4 v[16:19], v[32:33], off offset:544
	s_waitcnt vmcnt(2) lgkmcnt(0)
	v_mul_f64 v[20:21], v[6:7], v[30:31]
	v_mul_f64 v[22:23], v[4:5], v[30:31]
	v_fma_f64 v[4:5], v[4:5], v[28:29], -v[20:21]
	v_fma_f64 v[6:7], v[6:7], v[28:29], v[22:23]
	ds_read_b128 v[20:23], v160 offset:10880
	ds_read_b128 v[24:27], v160 offset:12240
	s_waitcnt vmcnt(1) lgkmcnt(1)
	v_mul_f64 v[28:29], v[22:23], v[14:15]
	v_mul_f64 v[14:15], v[20:21], v[14:15]
	v_fma_f64 v[20:21], v[20:21], v[12:13], -v[28:29]
	s_waitcnt vmcnt(0) lgkmcnt(0)
	v_mul_f64 v[28:29], v[26:27], v[18:19]
	v_mul_f64 v[18:19], v[24:25], v[18:19]
	v_fma_f64 v[22:23], v[22:23], v[12:13], v[14:15]
	global_load_dwordx4 v[12:15], v[32:33], off offset:1904
	v_fma_f64 v[24:25], v[24:25], v[16:17], -v[28:29]
	v_fma_f64 v[26:27], v[26:27], v[16:17], v[18:19]
	v_add_co_u32 v16, s0, 0x9000, v162
	v_add_co_ci_u32_e64 v17, s0, 0, v163, s0
	global_load_dwordx4 v[16:19], v[16:17], off offset:1216
	ds_read_b128 v[28:31], v160 offset:13600
	ds_read_b128 v[32:35], v160 offset:14960
	s_waitcnt vmcnt(1) lgkmcnt(1)
	v_mul_f64 v[36:37], v[30:31], v[14:15]
	v_mul_f64 v[14:15], v[28:29], v[14:15]
	v_fma_f64 v[28:29], v[28:29], v[12:13], -v[36:37]
	v_fma_f64 v[30:31], v[30:31], v[12:13], v[14:15]
	s_waitcnt vmcnt(0) lgkmcnt(0)
	v_mul_f64 v[12:13], v[34:35], v[18:19]
	v_mul_f64 v[14:15], v[32:33], v[18:19]
	v_fma_f64 v[12:13], v[32:33], v[16:17], -v[12:13]
	v_add_co_u32 v32, s0, 0x9800, v162
	v_add_co_ci_u32_e64 v33, s0, 0, v163, s0
	v_fma_f64 v[14:15], v[34:35], v[16:17], v[14:15]
	s_clause 0x1
	global_load_dwordx4 v[16:19], v[32:33], off offset:528
	global_load_dwordx4 v[32:35], v[32:33], off offset:1888
	ds_read_b128 v[36:39], v160 offset:16320
	ds_read_b128 v[40:43], v160 offset:17680
	s_waitcnt vmcnt(1) lgkmcnt(1)
	v_mul_f64 v[44:45], v[38:39], v[18:19]
	v_mul_f64 v[18:19], v[36:37], v[18:19]
	v_fma_f64 v[36:37], v[36:37], v[16:17], -v[44:45]
	v_fma_f64 v[38:39], v[38:39], v[16:17], v[18:19]
	s_waitcnt vmcnt(0) lgkmcnt(0)
	v_mul_f64 v[16:17], v[42:43], v[34:35]
	v_mul_f64 v[18:19], v[40:41], v[34:35]
	v_fma_f64 v[16:17], v[40:41], v[32:33], -v[16:17]
	v_fma_f64 v[18:19], v[42:43], v[32:33], v[18:19]
	v_add_co_u32 v32, s0, 0xa000, v162
	v_add_co_ci_u32_e64 v33, s0, 0, v163, s0
	v_add_co_u32 v52, s0, 0xa800, v162
	v_add_co_ci_u32_e64 v53, s0, 0, v163, s0
	s_clause 0x1
	global_load_dwordx4 v[32:35], v[32:33], off offset:1200
	global_load_dwordx4 v[40:43], v[52:53], off offset:512
	ds_read_b128 v[44:47], v160 offset:19040
	ds_read_b128 v[48:51], v160 offset:20400
	s_waitcnt vmcnt(1) lgkmcnt(1)
	v_mul_f64 v[54:55], v[46:47], v[34:35]
	v_mul_f64 v[34:35], v[44:45], v[34:35]
	v_fma_f64 v[44:45], v[44:45], v[32:33], -v[54:55]
	v_fma_f64 v[46:47], v[46:47], v[32:33], v[34:35]
	s_waitcnt vmcnt(0) lgkmcnt(0)
	v_mul_f64 v[32:33], v[50:51], v[42:43]
	v_mul_f64 v[34:35], v[48:49], v[42:43]
	v_fma_f64 v[32:33], v[48:49], v[40:41], -v[32:33]
	v_fma_f64 v[34:35], v[50:51], v[40:41], v[34:35]
	global_load_dwordx4 v[40:43], v[52:53], off offset:1872
	ds_read_b128 v[48:51], v160 offset:21760
	s_waitcnt vmcnt(0) lgkmcnt(0)
	v_mul_f64 v[52:53], v[50:51], v[42:43]
	v_mul_f64 v[42:43], v[48:49], v[42:43]
	v_fma_f64 v[48:49], v[48:49], v[40:41], -v[52:53]
	v_fma_f64 v[50:51], v[50:51], v[40:41], v[42:43]
	ds_write_b128 v160, v[208:211]
	ds_write_b128 v160, v[212:215] offset:1360
	ds_write_b128 v160, v[216:219] offset:2720
	;; [unrolled: 1-line block ×16, first 2 shown]
	s_waitcnt lgkmcnt(0)
	s_barrier
	buffer_gl0_inv
	ds_read_b128 v[208:211], v160
	ds_read_b128 v[212:215], v160 offset:1360
	ds_read_b128 v[216:219], v160 offset:2720
	;; [unrolled: 1-line block ×11, first 2 shown]
	s_waitcnt lgkmcnt(10)
	v_add_f64 v[0:1], v[208:209], v[212:213]
	v_add_f64 v[2:3], v[210:211], v[214:215]
	s_waitcnt lgkmcnt(2)
	v_add_f64 v[28:29], v[242:243], v[246:247]
	s_waitcnt lgkmcnt(1)
	v_add_f64 v[4:5], v[236:237], v[8:9]
	v_add_f64 v[32:33], v[238:239], v[10:11]
	v_add_f64 v[6:7], v[236:237], -v[8:9]
	v_add_f64 v[42:43], v[238:239], -v[10:11]
	s_waitcnt lgkmcnt(0)
	v_add_f64 v[44:45], v[234:235], v[14:15]
	v_add_f64 v[46:47], v[234:235], -v[14:15]
	v_add_f64 v[30:31], v[242:243], -v[246:247]
	v_add_f64 v[0:1], v[0:1], v[216:217]
	v_add_f64 v[2:3], v[2:3], v[218:219]
	v_mul_f64 v[248:249], v[32:33], s[34:35]
	v_mul_f64 v[250:251], v[30:31], s[44:45]
	v_add_f64 v[0:1], v[0:1], v[220:221]
	v_add_f64 v[2:3], v[2:3], v[222:223]
	v_add_f64 v[0:1], v[0:1], v[224:225]
	v_add_f64 v[2:3], v[2:3], v[226:227]
	v_add_f64 v[0:1], v[0:1], v[228:229]
	v_add_f64 v[2:3], v[2:3], v[230:231]
	v_add_f64 v[0:1], v[0:1], v[232:233]
	v_add_f64 v[2:3], v[2:3], v[234:235]
	v_mul_f64 v[234:235], v[44:45], s[24:25]
	v_add_f64 v[0:1], v[0:1], v[236:237]
	v_add_f64 v[2:3], v[2:3], v[238:239]
	;; [unrolled: 1-line block ×7, first 2 shown]
	v_add_f64 v[2:3], v[240:241], -v[244:245]
	v_mul_f64 v[246:247], v[42:43], s[42:43]
	v_add_f64 v[16:17], v[16:17], v[8:9]
	v_add_f64 v[18:19], v[18:19], v[10:11]
	;; [unrolled: 1-line block ×3, first 2 shown]
	v_add_f64 v[10:11], v[232:233], -v[12:13]
	v_add_f64 v[24:25], v[16:17], v[12:13]
	v_add_f64 v[26:27], v[18:19], v[14:15]
	ds_read_b128 v[16:19], v160 offset:16320
	ds_read_b128 v[20:23], v160 offset:17680
	s_waitcnt lgkmcnt(1)
	v_add_f64 v[12:13], v[228:229], v[16:17]
	v_add_f64 v[24:25], v[24:25], v[16:17]
	;; [unrolled: 1-line block ×4, first 2 shown]
	v_add_f64 v[14:15], v[228:229], -v[16:17]
	v_add_f64 v[56:57], v[230:231], -v[18:19]
	s_waitcnt lgkmcnt(0)
	v_add_f64 v[16:17], v[224:225], v[20:21]
	v_add_f64 v[70:71], v[226:227], v[22:23]
	v_add_f64 v[18:19], v[224:225], -v[20:21]
	v_add_f64 v[74:75], v[226:227], -v[22:23]
	v_mul_f64 v[230:231], v[46:47], s[46:47]
	v_add_f64 v[34:35], v[24:25], v[20:21]
	v_add_f64 v[48:49], v[26:27], v[22:23]
	ds_read_b128 v[24:27], v160 offset:19040
	ds_read_b128 v[38:41], v160 offset:20400
	s_waitcnt lgkmcnt(1)
	v_add_f64 v[20:21], v[220:221], v[24:25]
	v_add_f64 v[34:35], v[34:35], v[24:25]
	;; [unrolled: 1-line block ×4, first 2 shown]
	v_add_f64 v[22:23], v[220:221], -v[24:25]
	v_add_f64 v[80:81], v[222:223], -v[26:27]
	s_waitcnt lgkmcnt(0)
	v_add_f64 v[24:25], v[216:217], v[38:39]
	v_add_f64 v[84:85], v[218:219], v[40:41]
	v_add_f64 v[26:27], v[216:217], -v[38:39]
	v_add_f64 v[86:87], v[218:219], -v[40:41]
	v_add_f64 v[34:35], v[34:35], v[38:39]
	v_add_f64 v[48:49], v[48:49], v[40:41]
	ds_read_b128 v[38:41], v160 offset:21760
	s_waitcnt lgkmcnt(0)
	s_barrier
	buffer_gl0_inv
	v_add_f64 v[50:51], v[214:215], -v[40:41]
	v_add_f64 v[52:53], v[212:213], v[38:39]
	v_add_f64 v[58:59], v[212:213], -v[38:39]
	v_add_f64 v[216:217], v[34:35], v[38:39]
	v_add_f64 v[54:55], v[214:215], v[40:41]
	;; [unrolled: 1-line block ×3, first 2 shown]
	v_mul_f64 v[38:39], v[50:51], s[30:31]
	v_mul_f64 v[34:35], v[50:51], s[40:41]
	v_mul_f64 v[40:41], v[50:51], s[26:27]
	v_mul_f64 v[48:49], v[50:51], s[22:23]
	v_mul_f64 v[60:61], v[50:51], s[18:19]
	v_mul_f64 v[62:63], v[50:51], s[14:15]
	v_mul_f64 v[64:65], v[50:51], s[6:7]
	v_mul_f64 v[50:51], v[50:51], s[2:3]
	v_mul_f64 v[96:97], v[54:55], s[34:35]
	v_mul_f64 v[98:99], v[54:55], s[28:29]
	v_mul_f64 v[100:101], v[54:55], s[24:25]
	v_mul_f64 v[102:103], v[54:55], s[20:21]
	v_mul_f64 v[104:105], v[54:55], s[16:17]
	v_fma_f64 v[68:69], v[52:53], s[36:37], v[38:39]
	v_fma_f64 v[38:39], v[52:53], s[36:37], -v[38:39]
	v_fma_f64 v[66:67], v[52:53], s[38:39], v[34:35]
	v_fma_f64 v[34:35], v[52:53], s[38:39], -v[34:35]
	;; [unrolled: 2-line block ×8, first 2 shown]
	v_mul_f64 v[40:41], v[54:55], s[38:39]
	v_mul_f64 v[52:53], v[54:55], s[36:37]
	;; [unrolled: 1-line block ×3, first 2 shown]
	v_fma_f64 v[110:111], v[58:59], s[42:43], v[96:97]
	v_fma_f64 v[96:97], v[58:59], s[26:27], v[96:97]
	;; [unrolled: 1-line block ×4, first 2 shown]
	v_add_f64 v[122:123], v[208:209], v[38:39]
	v_mul_f64 v[38:39], v[86:87], s[30:31]
	v_fma_f64 v[114:115], v[58:59], s[46:47], v[100:101]
	v_fma_f64 v[100:101], v[58:59], s[18:19], v[100:101]
	;; [unrolled: 1-line block ×6, first 2 shown]
	v_add_f64 v[238:239], v[208:209], v[48:49]
	v_add_f64 v[242:243], v[208:209], v[60:61]
	;; [unrolled: 1-line block ×7, first 2 shown]
	v_fma_f64 v[106:107], v[58:59], s[44:45], v[40:41]
	v_fma_f64 v[40:41], v[58:59], s[40:41], v[40:41]
	v_fma_f64 v[108:109], v[58:59], s[50:51], v[52:53]
	v_fma_f64 v[52:53], v[58:59], s[30:31], v[52:53]
	v_fma_f64 v[120:121], v[58:59], s[52:53], v[54:55]
	v_fma_f64 v[54:55], v[58:59], s[2:3], v[54:55]
	v_add_f64 v[58:59], v[208:209], v[66:67]
	v_add_f64 v[236:237], v[208:209], v[82:83]
	v_fma_f64 v[48:49], v[24:25], s[36:37], v[38:39]
	v_add_f64 v[198:199], v[208:209], v[92:93]
	v_add_f64 v[244:245], v[208:209], v[90:91]
	;; [unrolled: 1-line block ×4, first 2 shown]
	v_mul_f64 v[102:103], v[84:85], s[28:29]
	v_add_f64 v[140:141], v[210:211], v[104:105]
	v_add_f64 v[196:197], v[210:211], v[118:119]
	;; [unrolled: 1-line block ×17, first 2 shown]
	v_mul_f64 v[48:49], v[84:85], s[36:37]
	v_add_f64 v[100:101], v[210:211], v[100:101]
	v_add_f64 v[116:117], v[210:211], v[116:117]
	v_fma_f64 v[104:105], v[26:27], s[54:55], v[102:103]
	v_fma_f64 v[102:103], v[26:27], s[22:23], v[102:103]
	;; [unrolled: 1-line block ×3, first 2 shown]
	v_add_f64 v[104:105], v[104:105], v[108:109]
	v_add_f64 v[102:103], v[102:103], v[162:163]
	;; [unrolled: 1-line block ×3, first 2 shown]
	v_mul_f64 v[50:51], v[80:81], s[26:27]
	v_fma_f64 v[58:59], v[20:21], s[34:35], v[50:51]
	v_add_f64 v[58:59], v[58:59], v[52:53]
	v_mul_f64 v[52:53], v[76:77], s[34:35]
	v_fma_f64 v[60:61], v[22:23], s[42:43], v[52:53]
	v_add_f64 v[60:61], v[60:61], v[54:55]
	;; [unrolled: 3-line block ×12, first 2 shown]
	v_mul_f64 v[92:93], v[86:87], s[22:23]
	v_fma_f64 v[94:95], v[24:25], s[28:29], v[92:93]
	v_fma_f64 v[92:93], v[24:25], s[28:29], -v[92:93]
	v_add_f64 v[94:95], v[94:95], v[106:107]
	v_mul_f64 v[106:107], v[80:81], s[14:15]
	v_add_f64 v[92:93], v[92:93], v[122:123]
	v_fma_f64 v[108:109], v[20:21], s[20:21], v[106:107]
	v_add_f64 v[94:95], v[108:109], v[94:95]
	v_mul_f64 v[108:109], v[76:77], s[20:21]
	v_fma_f64 v[118:119], v[22:23], s[56:57], v[108:109]
	v_add_f64 v[104:105], v[118:119], v[104:105]
	v_mul_f64 v[118:119], v[74:75], s[2:3]
	;; [unrolled: 3-line block ×5, first 2 shown]
	v_fma_f64 v[224:225], v[14:15], s[6:7], v[210:211]
	v_add_f64 v[104:105], v[224:225], v[104:105]
	v_fma_f64 v[224:225], v[8:9], s[24:25], v[230:231]
	v_add_f64 v[94:95], v[224:225], v[94:95]
	;; [unrolled: 2-line block ×6, first 2 shown]
	v_mul_f64 v[94:95], v[28:29], s[38:39]
	v_fma_f64 v[226:227], v[2:3], s[40:41], v[94:95]
	v_fma_f64 v[94:95], v[2:3], s[44:45], v[94:95]
	v_add_f64 v[226:227], v[226:227], v[104:105]
	v_fma_f64 v[104:105], v[20:21], s[20:21], -v[106:107]
	v_mul_f64 v[106:107], v[80:81], s[52:53]
	v_add_f64 v[92:93], v[104:105], v[92:93]
	v_fma_f64 v[104:105], v[22:23], s[14:15], v[108:109]
	v_fma_f64 v[108:109], v[20:21], s[12:13], v[106:107]
	v_add_f64 v[102:103], v[104:105], v[102:103]
	v_fma_f64 v[104:105], v[16:17], s[12:13], -v[118:119]
	v_add_f64 v[92:93], v[104:105], v[92:93]
	v_fma_f64 v[104:105], v[18:19], s[2:3], v[120:121]
	v_add_f64 v[102:103], v[104:105], v[102:103]
	v_fma_f64 v[104:105], v[12:13], s[16:17], -v[208:209]
	v_add_f64 v[92:93], v[104:105], v[92:93]
	;; [unrolled: 4-line block ×3, first 2 shown]
	v_fma_f64 v[104:105], v[10:11], s[46:47], v[234:235]
	v_mul_f64 v[234:235], v[44:45], s[38:39]
	v_add_f64 v[102:103], v[104:105], v[102:103]
	v_fma_f64 v[104:105], v[4:5], s[34:35], -v[246:247]
	v_mul_f64 v[246:247], v[42:43], s[22:23]
	v_add_f64 v[92:93], v[104:105], v[92:93]
	v_fma_f64 v[104:105], v[6:7], s[42:43], v[248:249]
	v_mul_f64 v[248:249], v[32:33], s[28:29]
	v_add_f64 v[102:103], v[104:105], v[102:103]
	v_fma_f64 v[104:105], v[0:1], s[38:39], -v[250:251]
	v_mul_f64 v[250:251], v[30:31], s[6:7]
	v_add_f64 v[210:211], v[94:95], v[102:103]
	v_add_f64 v[208:209], v[104:105], v[92:93]
	v_mul_f64 v[92:93], v[86:87], s[14:15]
	v_mul_f64 v[102:103], v[84:85], s[20:21]
	v_fma_f64 v[94:95], v[24:25], s[20:21], v[92:93]
	v_fma_f64 v[104:105], v[26:27], s[56:57], v[102:103]
	v_fma_f64 v[92:93], v[24:25], s[20:21], -v[92:93]
	v_fma_f64 v[102:103], v[26:27], s[14:15], v[102:103]
	v_add_f64 v[94:95], v[94:95], v[228:229]
	v_add_f64 v[104:105], v[104:105], v[110:111]
	;; [unrolled: 1-line block ×4, first 2 shown]
	v_fma_f64 v[102:103], v[20:21], s[12:13], -v[106:107]
	v_add_f64 v[94:95], v[108:109], v[94:95]
	v_mul_f64 v[108:109], v[76:77], s[12:13]
	v_add_f64 v[92:93], v[102:103], v[92:93]
	v_fma_f64 v[110:111], v[22:23], s[2:3], v[108:109]
	v_fma_f64 v[102:103], v[22:23], s[52:53], v[108:109]
	v_add_f64 v[104:105], v[110:111], v[104:105]
	v_mul_f64 v[110:111], v[74:75], s[46:47]
	v_add_f64 v[96:97], v[102:103], v[96:97]
	v_fma_f64 v[118:119], v[16:17], s[24:25], v[110:111]
	v_fma_f64 v[102:103], v[16:17], s[24:25], -v[110:111]
	v_add_f64 v[94:95], v[118:119], v[94:95]
	v_mul_f64 v[118:119], v[70:71], s[24:25]
	v_add_f64 v[92:93], v[102:103], v[92:93]
	v_fma_f64 v[120:121], v[18:19], s[18:19], v[118:119]
	v_fma_f64 v[102:103], v[18:19], s[46:47], v[118:119]
	v_add_f64 v[104:105], v[120:121], v[104:105]
	v_mul_f64 v[120:121], v[56:57], s[50:51]
	v_add_f64 v[96:97], v[102:103], v[96:97]
	v_fma_f64 v[122:123], v[12:13], s[36:37], v[120:121]
	;; [unrolled: 10-line block ×3, first 2 shown]
	v_fma_f64 v[102:103], v[8:9], s[38:39], -v[162:163]
	v_add_f64 v[94:95], v[228:229], v[94:95]
	v_fma_f64 v[228:229], v[10:11], s[44:45], v[234:235]
	v_add_f64 v[92:93], v[102:103], v[92:93]
	v_fma_f64 v[102:103], v[10:11], s[40:41], v[234:235]
	;; [unrolled: 2-line block ×3, first 2 shown]
	v_add_f64 v[96:97], v[102:103], v[96:97]
	v_fma_f64 v[102:103], v[4:5], s[28:29], -v[246:247]
	v_add_f64 v[94:95], v[228:229], v[94:95]
	v_fma_f64 v[228:229], v[6:7], s[54:55], v[248:249]
	v_add_f64 v[92:93], v[102:103], v[92:93]
	v_fma_f64 v[102:103], v[6:7], s[22:23], v[248:249]
	;; [unrolled: 2-line block ×3, first 2 shown]
	v_add_f64 v[96:97], v[102:103], v[96:97]
	v_fma_f64 v[102:103], v[0:1], s[16:17], -v[250:251]
	v_add_f64 v[228:229], v[228:229], v[94:95]
	v_mul_f64 v[94:95], v[28:29], s[16:17]
	v_add_f64 v[232:233], v[102:103], v[92:93]
	v_mul_f64 v[102:103], v[84:85], s[12:13]
	v_fma_f64 v[230:231], v[2:3], s[48:49], v[94:95]
	v_fma_f64 v[94:95], v[2:3], s[6:7], v[94:95]
	v_add_f64 v[230:231], v[230:231], v[104:105]
	v_add_f64 v[234:235], v[94:95], v[96:97]
	v_mul_f64 v[96:97], v[86:87], s[2:3]
	v_mul_f64 v[104:105], v[80:81], s[46:47]
	v_fma_f64 v[94:95], v[26:27], s[52:53], v[102:103]
	v_fma_f64 v[102:103], v[26:27], s[2:3], v[102:103]
	;; [unrolled: 1-line block ×4, first 2 shown]
	v_add_f64 v[94:95], v[94:95], v[112:113]
	v_fma_f64 v[96:97], v[24:25], s[12:13], -v[96:97]
	v_add_f64 v[98:99], v[102:103], v[98:99]
	v_fma_f64 v[102:103], v[20:21], s[24:25], -v[104:105]
	v_add_f64 v[92:93], v[92:93], v[236:237]
	v_add_f64 v[96:97], v[96:97], v[238:239]
	;; [unrolled: 1-line block ×3, first 2 shown]
	v_mul_f64 v[106:107], v[76:77], s[24:25]
	v_add_f64 v[96:97], v[102:103], v[96:97]
	v_fma_f64 v[108:109], v[22:23], s[18:19], v[106:107]
	v_fma_f64 v[102:103], v[22:23], s[46:47], v[106:107]
	v_mul_f64 v[106:107], v[80:81], s[50:51]
	v_add_f64 v[94:95], v[108:109], v[94:95]
	v_mul_f64 v[108:109], v[74:75], s[44:45]
	v_add_f64 v[98:99], v[102:103], v[98:99]
	v_fma_f64 v[110:111], v[16:17], s[38:39], v[108:109]
	v_fma_f64 v[102:103], v[16:17], s[38:39], -v[108:109]
	v_fma_f64 v[108:109], v[20:21], s[36:37], v[106:107]
	v_add_f64 v[92:93], v[110:111], v[92:93]
	v_mul_f64 v[110:111], v[70:71], s[38:39]
	v_add_f64 v[96:97], v[102:103], v[96:97]
	v_fma_f64 v[112:113], v[18:19], s[40:41], v[110:111]
	v_fma_f64 v[102:103], v[18:19], s[44:45], v[110:111]
	v_add_f64 v[94:95], v[112:113], v[94:95]
	v_mul_f64 v[112:113], v[56:57], s[26:27]
	v_add_f64 v[98:99], v[102:103], v[98:99]
	v_fma_f64 v[118:119], v[12:13], s[34:35], v[112:113]
	v_fma_f64 v[102:103], v[12:13], s[34:35], -v[112:113]
	v_add_f64 v[92:93], v[118:119], v[92:93]
	v_mul_f64 v[118:119], v[36:37], s[34:35]
	v_add_f64 v[96:97], v[102:103], v[96:97]
	v_fma_f64 v[120:121], v[14:15], s[42:43], v[118:119]
	v_fma_f64 v[102:103], v[14:15], s[26:27], v[118:119]
	v_add_f64 v[94:95], v[120:121], v[94:95]
	v_mul_f64 v[120:121], v[46:47], s[6:7]
	v_add_f64 v[98:99], v[102:103], v[98:99]
	v_fma_f64 v[122:123], v[8:9], s[16:17], v[120:121]
	v_fma_f64 v[102:103], v[8:9], s[16:17], -v[120:121]
	;; [unrolled: 10-line block ×4, first 2 shown]
	v_add_f64 v[92:93], v[248:249], v[92:93]
	v_mul_f64 v[248:249], v[28:29], s[36:37]
	v_add_f64 v[236:237], v[102:103], v[96:97]
	v_mul_f64 v[102:103], v[86:87], s[48:49]
	v_fma_f64 v[104:105], v[2:3], s[50:51], v[248:249]
	v_fma_f64 v[250:251], v[2:3], s[30:31], v[248:249]
	v_fma_f64 v[96:97], v[24:25], s[16:17], v[102:103]
	v_fma_f64 v[102:103], v[24:25], s[16:17], -v[102:103]
	v_add_f64 v[238:239], v[104:105], v[98:99]
	v_mul_f64 v[104:105], v[84:85], s[16:17]
	v_add_f64 v[96:97], v[96:97], v[240:241]
	v_add_f64 v[102:103], v[102:103], v[242:243]
	;; [unrolled: 1-line block ×3, first 2 shown]
	v_fma_f64 v[98:99], v[26:27], s[6:7], v[104:105]
	v_add_f64 v[96:97], v[108:109], v[96:97]
	v_mul_f64 v[108:109], v[76:77], s[36:37]
	v_fma_f64 v[104:105], v[26:27], s[48:49], v[104:105]
	v_add_f64 v[98:99], v[98:99], v[114:115]
	v_fma_f64 v[110:111], v[22:23], s[30:31], v[108:109]
	v_add_f64 v[100:101], v[104:105], v[100:101]
	v_fma_f64 v[104:105], v[20:21], s[36:37], -v[106:107]
	v_add_f64 v[98:99], v[110:111], v[98:99]
	v_mul_f64 v[110:111], v[74:75], s[26:27]
	v_add_f64 v[102:103], v[104:105], v[102:103]
	v_fma_f64 v[104:105], v[22:23], s[50:51], v[108:109]
	v_mul_f64 v[108:109], v[86:87], s[46:47]
	v_fma_f64 v[112:113], v[16:17], s[34:35], v[110:111]
	v_add_f64 v[100:101], v[104:105], v[100:101]
	v_fma_f64 v[104:105], v[16:17], s[34:35], -v[110:111]
	v_mul_f64 v[110:111], v[84:85], s[24:25]
	v_add_f64 v[96:97], v[112:113], v[96:97]
	v_mul_f64 v[112:113], v[70:71], s[34:35]
	v_add_f64 v[102:103], v[104:105], v[102:103]
	v_fma_f64 v[114:115], v[18:19], s[42:43], v[112:113]
	v_fma_f64 v[104:105], v[18:19], s[26:27], v[112:113]
	v_mul_f64 v[112:113], v[80:81], s[40:41]
	v_add_f64 v[98:99], v[114:115], v[98:99]
	v_mul_f64 v[114:115], v[56:57], s[2:3]
	v_add_f64 v[100:101], v[104:105], v[100:101]
	v_fma_f64 v[118:119], v[12:13], s[12:13], v[114:115]
	v_fma_f64 v[104:105], v[12:13], s[12:13], -v[114:115]
	v_fma_f64 v[114:115], v[20:21], s[38:39], v[112:113]
	v_fma_f64 v[112:113], v[20:21], s[38:39], -v[112:113]
	v_add_f64 v[96:97], v[118:119], v[96:97]
	v_mul_f64 v[118:119], v[36:37], s[12:13]
	v_add_f64 v[102:103], v[104:105], v[102:103]
	v_fma_f64 v[120:121], v[14:15], s[52:53], v[118:119]
	v_fma_f64 v[104:105], v[14:15], s[2:3], v[118:119]
	v_add_f64 v[98:99], v[120:121], v[98:99]
	v_mul_f64 v[120:121], v[46:47], s[54:55]
	v_add_f64 v[100:101], v[104:105], v[100:101]
	v_fma_f64 v[122:123], v[8:9], s[28:29], v[120:121]
	v_fma_f64 v[104:105], v[8:9], s[28:29], -v[120:121]
	v_add_f64 v[96:97], v[122:123], v[96:97]
	v_mul_f64 v[122:123], v[44:45], s[28:29]
	v_add_f64 v[102:103], v[104:105], v[102:103]
	v_fma_f64 v[162:163], v[10:11], s[22:23], v[122:123]
	v_fma_f64 v[104:105], v[10:11], s[54:55], v[122:123]
	v_add_f64 v[98:99], v[162:163], v[98:99]
	v_mul_f64 v[162:163], v[42:43], s[40:41]
	v_add_f64 v[100:101], v[104:105], v[100:101]
	;; [unrolled: 10-line block ×3, first 2 shown]
	v_fma_f64 v[248:249], v[0:1], s[20:21], v[246:247]
	v_fma_f64 v[100:101], v[0:1], s[20:21], -v[246:247]
	v_add_f64 v[96:97], v[248:249], v[96:97]
	v_mul_f64 v[248:249], v[28:29], s[20:21]
	v_add_f64 v[100:101], v[100:101], v[102:103]
	v_fma_f64 v[106:107], v[2:3], s[14:15], v[248:249]
	v_fma_f64 v[250:251], v[2:3], s[56:57], v[248:249]
	v_add_f64 v[102:103], v[106:107], v[104:105]
	v_fma_f64 v[104:105], v[24:25], s[24:25], v[108:109]
	v_fma_f64 v[106:107], v[26:27], s[18:19], v[110:111]
	v_fma_f64 v[108:109], v[24:25], s[24:25], -v[108:109]
	v_fma_f64 v[110:111], v[26:27], s[46:47], v[110:111]
	v_add_f64 v[98:99], v[250:251], v[98:99]
	v_add_f64 v[104:105], v[104:105], v[244:245]
	;; [unrolled: 1-line block ×5, first 2 shown]
	v_mul_f64 v[212:213], v[36:37], s[38:39]
	v_mul_f64 v[214:215], v[46:47], s[2:3]
	v_add_f64 v[104:105], v[114:115], v[104:105]
	v_mul_f64 v[114:115], v[76:77], s[38:39]
	v_add_f64 v[108:109], v[112:113], v[108:109]
	v_fma_f64 v[116:117], v[22:23], s[44:45], v[114:115]
	v_fma_f64 v[112:113], v[22:23], s[40:41], v[114:115]
	v_add_f64 v[106:107], v[116:117], v[106:107]
	v_mul_f64 v[116:117], v[74:75], s[6:7]
	v_add_f64 v[110:111], v[112:113], v[110:111]
	v_fma_f64 v[118:119], v[16:17], s[16:17], v[116:117]
	v_fma_f64 v[112:113], v[16:17], s[16:17], -v[116:117]
	v_mul_f64 v[116:117], v[80:81], s[22:23]
	v_mul_f64 v[80:81], v[80:81], s[6:7]
	v_add_f64 v[104:105], v[118:119], v[104:105]
	v_mul_f64 v[118:119], v[70:71], s[16:17]
	v_add_f64 v[108:109], v[112:113], v[108:109]
	v_fma_f64 v[120:121], v[18:19], s[48:49], v[118:119]
	v_fma_f64 v[112:113], v[18:19], s[6:7], v[118:119]
	;; [unrolled: 1-line block ×3, first 2 shown]
	v_add_f64 v[106:107], v[120:121], v[106:107]
	v_mul_f64 v[120:121], v[56:57], s[54:55]
	v_add_f64 v[110:111], v[112:113], v[110:111]
	v_fma_f64 v[122:123], v[12:13], s[28:29], v[120:121]
	v_fma_f64 v[112:113], v[12:13], s[28:29], -v[120:121]
	v_add_f64 v[104:105], v[122:123], v[104:105]
	v_mul_f64 v[122:123], v[36:37], s[28:29]
	v_add_f64 v[108:109], v[112:113], v[108:109]
	v_mul_f64 v[36:37], v[36:37], s[20:21]
	v_fma_f64 v[162:163], v[14:15], s[22:23], v[122:123]
	v_fma_f64 v[112:113], v[14:15], s[54:55], v[122:123]
	v_add_f64 v[106:107], v[162:163], v[106:107]
	v_mul_f64 v[162:163], v[46:47], s[30:31]
	v_add_f64 v[110:111], v[112:113], v[110:111]
	v_mul_f64 v[46:47], v[46:47], s[42:43]
	v_fma_f64 v[240:241], v[8:9], s[36:37], v[162:163]
	v_fma_f64 v[112:113], v[8:9], s[36:37], -v[162:163]
	v_add_f64 v[104:105], v[240:241], v[104:105]
	v_mul_f64 v[240:241], v[44:45], s[36:37]
	v_add_f64 v[108:109], v[112:113], v[108:109]
	v_fma_f64 v[242:243], v[10:11], s[50:51], v[240:241]
	v_fma_f64 v[112:113], v[10:11], s[30:31], v[240:241]
	v_add_f64 v[106:107], v[242:243], v[106:107]
	v_mul_f64 v[242:243], v[42:43], s[2:3]
	v_add_f64 v[110:111], v[112:113], v[110:111]
	v_fma_f64 v[244:245], v[4:5], s[12:13], v[242:243]
	v_fma_f64 v[112:113], v[4:5], s[12:13], -v[242:243]
	v_add_f64 v[104:105], v[244:245], v[104:105]
	v_mul_f64 v[244:245], v[32:33], s[12:13]
	v_add_f64 v[108:109], v[112:113], v[108:109]
	v_fma_f64 v[246:247], v[6:7], s[52:53], v[244:245]
	v_fma_f64 v[112:113], v[6:7], s[2:3], v[244:245]
	v_mul_f64 v[244:245], v[44:45], s[12:13]
	v_mul_f64 v[44:45], v[44:45], s[34:35]
	v_add_f64 v[106:107], v[246:247], v[106:107]
	v_mul_f64 v[246:247], v[30:31], s[42:43]
	v_add_f64 v[110:111], v[112:113], v[110:111]
	v_fma_f64 v[248:249], v[0:1], s[34:35], v[246:247]
	v_fma_f64 v[112:113], v[0:1], s[34:35], -v[246:247]
	v_mul_f64 v[246:247], v[42:43], s[50:51]
	v_mul_f64 v[42:43], v[42:43], s[18:19]
	v_add_f64 v[104:105], v[248:249], v[104:105]
	v_mul_f64 v[248:249], v[28:29], s[34:35]
	v_add_f64 v[240:241], v[112:113], v[108:109]
	v_mul_f64 v[108:109], v[86:87], s[42:43]
	v_mul_f64 v[112:113], v[84:85], s[34:35]
	;; [unrolled: 1-line block ×4, first 2 shown]
	v_fma_f64 v[114:115], v[2:3], s[42:43], v[248:249]
	v_fma_f64 v[250:251], v[2:3], s[26:27], v[248:249]
	v_mul_f64 v[248:249], v[32:33], s[36:37]
	v_mul_f64 v[32:33], v[32:33], s[24:25]
	v_add_f64 v[242:243], v[114:115], v[110:111]
	v_fma_f64 v[110:111], v[24:25], s[34:35], v[108:109]
	v_fma_f64 v[114:115], v[26:27], s[26:27], v[112:113]
	v_add_f64 v[106:107], v[250:251], v[106:107]
	v_mul_f64 v[250:251], v[30:31], s[18:19]
	v_fma_f64 v[108:109], v[24:25], s[34:35], -v[108:109]
	v_fma_f64 v[112:113], v[26:27], s[42:43], v[112:113]
	v_add_f64 v[110:111], v[110:111], v[198:199]
	v_add_f64 v[114:115], v[114:115], v[196:197]
	;; [unrolled: 1-line block ×5, first 2 shown]
	v_mul_f64 v[118:119], v[76:77], s[28:29]
	v_mul_f64 v[76:77], v[76:77], s[16:17]
	v_fma_f64 v[120:121], v[22:23], s[54:55], v[118:119]
	v_add_f64 v[114:115], v[120:121], v[114:115]
	v_mul_f64 v[120:121], v[74:75], s[56:57]
	v_mul_f64 v[74:75], v[74:75], s[50:51]
	v_fma_f64 v[122:123], v[16:17], s[20:21], v[120:121]
	v_add_f64 v[110:111], v[122:123], v[110:111]
	;; [unrolled: 4-line block ×4, first 2 shown]
	v_fma_f64 v[196:197], v[14:15], s[44:45], v[212:213]
	v_add_f64 v[114:115], v[196:197], v[114:115]
	v_fma_f64 v[196:197], v[8:9], s[12:13], v[214:215]
	v_add_f64 v[110:111], v[196:197], v[110:111]
	;; [unrolled: 2-line block ×6, first 2 shown]
	v_mul_f64 v[110:111], v[28:29], s[24:25]
	v_fma_f64 v[198:199], v[2:3], s[46:47], v[110:111]
	v_fma_f64 v[110:111], v[2:3], s[18:19], v[110:111]
	v_add_f64 v[198:199], v[198:199], v[114:115]
	v_fma_f64 v[114:115], v[20:21], s[28:29], -v[116:117]
	v_add_f64 v[108:109], v[114:115], v[108:109]
	v_fma_f64 v[114:115], v[22:23], s[22:23], v[118:119]
	v_add_f64 v[112:113], v[114:115], v[112:113]
	v_fma_f64 v[114:115], v[16:17], s[20:21], -v[120:121]
	v_add_f64 v[108:109], v[114:115], v[108:109]
	;; [unrolled: 4-line block ×6, first 2 shown]
	v_add_f64 v[140:141], v[114:115], v[108:109]
	v_fma_f64 v[108:109], v[24:25], s[38:39], v[86:87]
	v_fma_f64 v[86:87], v[24:25], s[38:39], -v[86:87]
	v_fma_f64 v[24:25], v[24:25], s[36:37], -v[38:39]
	v_mul_f64 v[110:111], v[28:29], s[28:29]
	v_add_f64 v[90:91], v[108:109], v[90:91]
	v_fma_f64 v[108:109], v[26:27], s[40:41], v[84:85]
	v_fma_f64 v[84:85], v[26:27], s[44:45], v[84:85]
	v_fma_f64 v[26:27], v[26:27], s[30:31], v[48:49]
	v_add_f64 v[86:87], v[86:87], v[138:139]
	v_add_f64 v[24:25], v[24:25], v[34:35]
	v_add_f64 v[88:89], v[108:109], v[88:89]
	v_fma_f64 v[108:109], v[20:21], s[16:17], v[80:81]
	v_add_f64 v[84:85], v[84:85], v[136:137]
	v_fma_f64 v[80:81], v[20:21], s[16:17], -v[80:81]
	v_add_f64 v[26:27], v[26:27], v[40:41]
	v_fma_f64 v[20:21], v[20:21], s[34:35], -v[50:51]
	v_add_f64 v[90:91], v[108:109], v[90:91]
	v_fma_f64 v[108:109], v[22:23], s[48:49], v[76:77]
	v_fma_f64 v[76:77], v[22:23], s[6:7], v[76:77]
	v_fma_f64 v[22:23], v[22:23], s[26:27], v[52:53]
	v_add_f64 v[80:81], v[80:81], v[86:87]
	v_add_f64 v[20:21], v[20:21], v[24:25]
	v_add_f64 v[88:89], v[108:109], v[88:89]
	v_fma_f64 v[108:109], v[16:17], s[36:37], v[74:75]
	v_add_f64 v[76:77], v[76:77], v[84:85]
	v_fma_f64 v[74:75], v[16:17], s[36:37], -v[74:75]
	v_add_f64 v[22:23], v[22:23], v[26:27]
	v_fma_f64 v[16:17], v[16:17], s[28:29], -v[54:55]
	v_add_f64 v[90:91], v[108:109], v[90:91]
	v_fma_f64 v[108:109], v[18:19], s[30:31], v[70:71]
	v_fma_f64 v[70:71], v[18:19], s[50:51], v[70:71]
	v_fma_f64 v[18:19], v[18:19], s[22:23], v[58:59]
	v_add_f64 v[74:75], v[74:75], v[80:81]
	v_add_f64 v[16:17], v[16:17], v[20:21]
	v_add_f64 v[88:89], v[108:109], v[88:89]
	v_fma_f64 v[108:109], v[12:13], s[20:21], v[56:57]
	v_add_f64 v[70:71], v[70:71], v[76:77]
	v_fma_f64 v[56:57], v[12:13], s[20:21], -v[56:57]
	v_add_f64 v[18:19], v[18:19], v[22:23]
	v_fma_f64 v[12:13], v[12:13], s[24:25], -v[60:61]
	v_add_f64 v[90:91], v[108:109], v[90:91]
	v_fma_f64 v[108:109], v[14:15], s[56:57], v[36:37]
	v_fma_f64 v[36:37], v[14:15], s[14:15], v[36:37]
	v_fma_f64 v[14:15], v[14:15], s[18:19], v[62:63]
	v_add_f64 v[56:57], v[56:57], v[74:75]
	v_add_f64 v[12:13], v[12:13], v[16:17]
	v_add_f64 v[88:89], v[108:109], v[88:89]
	v_fma_f64 v[108:109], v[8:9], s[34:35], v[46:47]
	v_add_f64 v[36:37], v[36:37], v[70:71]
	v_fma_f64 v[46:47], v[8:9], s[34:35], -v[46:47]
	v_add_f64 v[14:15], v[14:15], v[18:19]
	v_fma_f64 v[8:9], v[8:9], s[20:21], -v[64:65]
	v_add_f64 v[90:91], v[108:109], v[90:91]
	v_fma_f64 v[108:109], v[10:11], s[26:27], v[44:45]
	v_fma_f64 v[44:45], v[10:11], s[42:43], v[44:45]
	v_fma_f64 v[10:11], v[10:11], s[14:15], v[66:67]
	v_add_f64 v[46:47], v[46:47], v[56:57]
	v_add_f64 v[8:9], v[8:9], v[12:13]
	v_add_f64 v[88:89], v[108:109], v[88:89]
	v_fma_f64 v[108:109], v[4:5], s[24:25], v[42:43]
	v_add_f64 v[36:37], v[44:45], v[36:37]
	v_fma_f64 v[42:43], v[4:5], s[24:25], -v[42:43]
	v_add_f64 v[10:11], v[10:11], v[14:15]
	v_fma_f64 v[4:5], v[4:5], s[16:17], -v[68:69]
	v_fma_f64 v[44:45], v[2:3], s[54:55], v[110:111]
	v_add_f64 v[90:91], v[108:109], v[90:91]
	v_fma_f64 v[108:109], v[6:7], s[46:47], v[32:33]
	v_fma_f64 v[32:33], v[6:7], s[18:19], v[32:33]
	;; [unrolled: 1-line block ×3, first 2 shown]
	v_add_f64 v[42:43], v[42:43], v[46:47]
	v_add_f64 v[4:5], v[4:5], v[8:9]
	;; [unrolled: 1-line block ×3, first 2 shown]
	v_mul_f64 v[108:109], v[30:31], s[54:55]
	v_fma_f64 v[30:31], v[2:3], s[22:23], v[110:111]
	v_add_f64 v[32:33], v[32:33], v[36:37]
	v_add_f64 v[6:7], v[6:7], v[10:11]
	v_fma_f64 v[2:3], v[2:3], s[2:3], v[82:83]
	v_fma_f64 v[28:29], v[0:1], s[28:29], v[108:109]
	v_fma_f64 v[36:37], v[0:1], s[28:29], -v[108:109]
	v_fma_f64 v[0:1], v[0:1], s[12:13], -v[78:79]
	v_add_f64 v[30:31], v[30:31], v[88:89]
	v_add_f64 v[44:45], v[44:45], v[32:33]
	;; [unrolled: 1-line block ×6, first 2 shown]
	ds_write_b128 v161, v[216:219]
	ds_write_b128 v161, v[220:223] offset:16
	ds_write_b128 v161, v[224:227] offset:32
	;; [unrolled: 1-line block ×16, first 2 shown]
	s_waitcnt lgkmcnt(0)
	s_barrier
	buffer_gl0_inv
	ds_read_b128 v[224:227], v160
	ds_read_b128 v[220:223], v160 offset:1360
	ds_read_b128 v[12:15], v160 offset:9248
	;; [unrolled: 1-line block ×14, first 2 shown]
	s_and_saveexec_b32 s0, vcc_lo
	s_cbranch_execz .LBB0_7
; %bb.6:
	ds_read_b128 v[208:211], v160 offset:4080
	ds_read_b128 v[212:215], v160 offset:8704
	;; [unrolled: 1-line block ×3, first 2 shown]
	s_waitcnt lgkmcnt(0)
	buffer_store_dword v20, off, s[60:63], 0 ; 4-byte Folded Spill
	buffer_store_dword v21, off, s[60:63], 0 offset:4 ; 4-byte Folded Spill
	buffer_store_dword v22, off, s[60:63], 0 offset:8 ; 4-byte Folded Spill
	;; [unrolled: 1-line block ×3, first 2 shown]
	ds_read_b128 v[20:23], v160 offset:17952
	s_waitcnt lgkmcnt(0)
	buffer_store_dword v20, off, s[60:63], 0 offset:16 ; 4-byte Folded Spill
	buffer_store_dword v21, off, s[60:63], 0 offset:20 ; 4-byte Folded Spill
	;; [unrolled: 1-line block ×4, first 2 shown]
	ds_read_b128 v[20:23], v160 offset:22576
	s_waitcnt lgkmcnt(0)
	buffer_store_dword v20, off, s[60:63], 0 offset:32 ; 4-byte Folded Spill
	buffer_store_dword v21, off, s[60:63], 0 offset:36 ; 4-byte Folded Spill
	;; [unrolled: 1-line block ×4, first 2 shown]
.LBB0_7:
	s_or_b32 exec_lo, exec_lo, s0
	s_clause 0x7
	buffer_load_dword v40, off, s[60:63], 0 offset:340
	buffer_load_dword v41, off, s[60:63], 0 offset:344
	;; [unrolled: 1-line block ×8, first 2 shown]
	s_waitcnt lgkmcnt(12)
	v_mul_f64 v[20:21], v[194:195], v[14:15]
	v_mul_f64 v[22:23], v[194:195], v[12:13]
	s_waitcnt lgkmcnt(4)
	v_mul_f64 v[24:25], v[190:191], v[18:19]
	v_mul_f64 v[26:27], v[190:191], v[16:17]
	;; [unrolled: 1-line block ×4, first 2 shown]
	s_waitcnt lgkmcnt(2)
	v_mul_f64 v[36:37], v[166:167], v[254:255]
	v_mul_f64 v[38:39], v[166:167], v[252:253]
	s_mov_b32 s12, 0x134454ff
	s_mov_b32 s13, 0xbfee6f0e
	;; [unrolled: 1-line block ×10, first 2 shown]
	s_waitcnt vmcnt(0) lgkmcnt(0)
	s_waitcnt_vscnt null, 0x0
	s_barrier
	buffer_gl0_inv
	v_fma_f64 v[12:13], v[192:193], v[12:13], v[20:21]
	v_fma_f64 v[14:15], v[192:193], v[14:15], -v[22:23]
	v_fma_f64 v[16:17], v[188:189], v[16:17], v[24:25]
	v_fma_f64 v[18:19], v[188:189], v[18:19], -v[26:27]
	v_mul_f64 v[24:25], v[154:155], v[238:239]
	v_mul_f64 v[26:27], v[154:155], v[236:237]
	v_fma_f64 v[0:1], v[176:177], v[0:1], v[32:33]
	v_fma_f64 v[32:33], v[176:177], v[2:3], -v[34:35]
	v_mul_f64 v[2:3], v[158:159], v[230:231]
	v_mul_f64 v[34:35], v[158:159], v[228:229]
	v_fma_f64 v[36:37], v[164:165], v[252:253], v[36:37]
	v_fma_f64 v[38:39], v[164:165], v[254:255], -v[38:39]
	v_add_f64 v[48:49], v[12:13], v[16:17]
	v_add_f64 v[50:51], v[14:15], v[18:19]
	v_fma_f64 v[24:25], v[152:153], v[236:237], v[24:25]
	v_fma_f64 v[26:27], v[152:153], v[238:239], -v[26:27]
	v_add_f64 v[74:75], v[12:13], -v[16:17]
	v_add_f64 v[84:85], v[220:221], v[0:1]
	v_fma_f64 v[64:65], v[156:157], v[228:229], v[2:3]
	v_fma_f64 v[66:67], v[156:157], v[230:231], -v[34:35]
	v_add_f64 v[2:3], v[14:15], -v[18:19]
	v_add_f64 v[100:101], v[222:223], v[32:33]
	v_fma_f64 v[48:49], v[48:49], -0.5, v[224:225]
	v_fma_f64 v[50:51], v[50:51], -0.5, v[226:227]
	v_add_f64 v[70:71], v[24:25], v[36:37]
	v_add_f64 v[96:97], v[26:27], v[38:39]
	v_add_f64 v[88:89], v[26:27], -v[38:39]
	v_add_f64 v[90:91], v[0:1], -v[24:25]
	;; [unrolled: 1-line block ×3, first 2 shown]
	v_fma_f64 v[70:71], v[70:71], -0.5, v[220:221]
	v_fma_f64 v[96:97], v[96:97], -0.5, v[222:223]
	v_mul_f64 v[28:29], v[42:43], v[10:11]
	v_mul_f64 v[30:31], v[42:43], v[8:9]
	;; [unrolled: 1-line block ×6, first 2 shown]
	v_fma_f64 v[8:9], v[40:41], v[8:9], v[28:29]
	v_fma_f64 v[10:11], v[40:41], v[10:11], -v[30:31]
	v_fma_f64 v[4:5], v[44:45], v[4:5], v[20:21]
	v_fma_f64 v[6:7], v[44:45], v[6:7], -v[22:23]
	v_mul_f64 v[28:29], v[170:171], v[242:243]
	v_mul_f64 v[30:31], v[170:171], v[240:241]
	;; [unrolled: 1-line block ×6, first 2 shown]
	v_fma_f64 v[42:43], v[180:181], v[246:247], -v[42:43]
	v_fma_f64 v[46:47], v[172:173], v[234:235], -v[46:47]
	v_add_f64 v[54:55], v[224:225], v[8:9]
	v_add_f64 v[58:59], v[226:227], v[10:11]
	v_add_f64 v[62:63], v[8:9], -v[4:5]
	v_add_f64 v[56:57], v[10:11], -v[6:7]
	v_add_f64 v[60:61], v[10:11], v[6:7]
	v_fma_f64 v[28:29], v[168:169], v[240:241], v[28:29]
	v_fma_f64 v[30:31], v[168:169], v[242:243], -v[30:31]
	v_fma_f64 v[40:41], v[180:181], v[244:245], v[40:41]
	v_fma_f64 v[20:21], v[184:185], v[248:249], v[20:21]
	;; [unrolled: 1-line block ×3, first 2 shown]
	v_add_f64 v[52:53], v[8:9], v[4:5]
	v_add_f64 v[34:35], v[8:9], -v[12:13]
	v_add_f64 v[68:69], v[4:5], -v[16:17]
	;; [unrolled: 1-line block ×6, first 2 shown]
	v_fma_f64 v[22:23], v[184:185], v[250:251], -v[22:23]
	v_add_f64 v[72:73], v[16:17], -v[4:5]
	v_add_f64 v[82:83], v[18:19], -v[6:7]
	v_add_f64 v[106:107], v[42:43], v[66:67]
	v_add_f64 v[116:117], v[46:47], -v[66:67]
	v_add_f64 v[12:13], v[54:55], v[12:13]
	v_add_f64 v[14:15], v[58:59], v[14:15]
	v_fma_f64 v[58:59], v[56:57], s[12:13], v[48:49]
	v_fma_f64 v[54:55], v[60:61], -0.5, v[226:227]
	v_fma_f64 v[48:49], v[56:57], s[14:15], v[48:49]
	v_fma_f64 v[60:61], v[62:63], s[14:15], v[50:51]
	;; [unrolled: 1-line block ×3, first 2 shown]
	v_add_f64 v[80:81], v[0:1], v[28:29]
	v_add_f64 v[86:87], v[32:33], -v[30:31]
	v_fma_f64 v[52:53], v[52:53], -0.5, v[224:225]
	v_add_f64 v[102:103], v[32:33], v[30:31]
	v_add_f64 v[34:35], v[34:35], v[68:69]
	v_add_f64 v[92:93], v[28:29], -v[36:37]
	v_add_f64 v[98:99], v[36:37], -v[28:29]
	v_add_f64 v[68:69], v[76:77], v[78:79]
	v_add_f64 v[78:79], v[40:41], v[64:65]
	;; [unrolled: 1-line block ×3, first 2 shown]
	v_add_f64 v[108:109], v[0:1], -v[28:29]
	v_add_f64 v[72:73], v[8:9], v[72:73]
	v_add_f64 v[82:83], v[10:11], v[82:83]
	v_add_f64 v[114:115], v[42:43], -v[22:23]
	v_add_f64 v[12:13], v[12:13], v[16:17]
	v_add_f64 v[14:15], v[14:15], v[18:19]
	v_fma_f64 v[18:19], v[2:3], s[2:3], v[58:59]
	v_fma_f64 v[16:17], v[74:75], s[12:13], v[54:55]
	;; [unrolled: 1-line block ×6, first 2 shown]
	v_add_f64 v[60:61], v[84:85], v[24:25]
	v_add_f64 v[74:75], v[20:21], v[44:45]
	v_fma_f64 v[80:81], v[80:81], -0.5, v[220:221]
	v_fma_f64 v[76:77], v[2:3], s[14:15], v[52:53]
	v_fma_f64 v[52:53], v[2:3], s[12:13], v[52:53]
	;; [unrolled: 1-line block ×4, first 2 shown]
	v_add_f64 v[0:1], v[12:13], v[4:5]
	v_add_f64 v[2:3], v[14:15], v[6:7]
	v_add_f64 v[12:13], v[24:25], -v[36:37]
	v_fma_f64 v[4:5], v[34:35], s[0:1], v[18:19]
	v_fma_f64 v[14:15], v[62:63], s[6:7], v[16:17]
	;; [unrolled: 1-line block ×3, first 2 shown]
	v_fma_f64 v[16:17], v[102:103], -0.5, v[222:223]
	v_fma_f64 v[10:11], v[68:69], s[0:1], v[50:51]
	v_fma_f64 v[18:19], v[62:63], s[2:3], v[54:55]
	v_add_f64 v[34:35], v[60:61], v[36:37]
	v_add_f64 v[48:49], v[216:217], v[40:41]
	v_fma_f64 v[50:51], v[74:75], -0.5, v[216:217]
	v_add_f64 v[54:55], v[42:43], -v[66:67]
	v_add_f64 v[60:61], v[22:23], -v[46:47]
	v_fma_f64 v[62:63], v[78:79], -0.5, v[216:217]
	v_fma_f64 v[110:111], v[88:89], s[14:15], v[80:81]
	v_fma_f64 v[76:77], v[56:57], s[2:3], v[76:77]
	;; [unrolled: 1-line block ×5, first 2 shown]
	v_add_f64 v[36:37], v[90:91], v[92:93]
	v_fma_f64 v[56:57], v[88:89], s[6:7], v[70:71]
	v_add_f64 v[68:69], v[94:95], v[98:99]
	v_fma_f64 v[70:71], v[88:89], s[12:13], v[80:81]
	v_fma_f64 v[78:79], v[104:105], -0.5, v[218:219]
	v_add_f64 v[80:81], v[40:41], -v[64:65]
	v_add_f64 v[84:85], v[100:101], v[26:27]
	v_add_f64 v[88:89], v[20:21], -v[44:45]
	v_fma_f64 v[90:91], v[106:107], -0.5, v[218:219]
	v_fma_f64 v[92:93], v[108:109], s[14:15], v[96:97]
	v_add_f64 v[94:95], v[32:33], -v[26:27]
	v_fma_f64 v[96:97], v[108:109], s[12:13], v[96:97]
	v_fma_f64 v[100:101], v[12:13], s[12:13], v[16:17]
	v_add_f64 v[26:27], v[26:27], -v[32:33]
	v_add_f64 v[32:33], v[38:39], -v[30:31]
	v_add_f64 v[48:49], v[48:49], v[20:21]
	v_fma_f64 v[104:105], v[54:55], s[12:13], v[50:51]
	v_add_f64 v[106:107], v[40:41], -v[20:21]
	v_fma_f64 v[50:51], v[54:55], s[14:15], v[50:51]
	v_fma_f64 v[112:113], v[60:61], s[14:15], v[62:63]
	v_add_f64 v[20:21], v[20:21], -v[40:41]
	v_add_f64 v[40:41], v[44:45], -v[64:65]
	v_fma_f64 v[58:59], v[86:87], s[2:3], v[110:111]
	v_fma_f64 v[102:103], v[12:13], s[14:15], v[16:17]
	v_add_f64 v[110:111], v[64:65], -v[44:45]
	v_fma_f64 v[62:63], v[60:61], s[12:13], v[62:63]
	v_fma_f64 v[16:17], v[72:73], s[0:1], v[52:53]
	;; [unrolled: 1-line block ×4, first 2 shown]
	v_add_f64 v[74:75], v[218:219], v[42:43]
	v_add_f64 v[98:99], v[30:31], -v[38:39]
	v_fma_f64 v[92:93], v[12:13], s[6:7], v[92:93]
	v_fma_f64 v[70:71], v[86:87], s[6:7], v[70:71]
	;; [unrolled: 1-line block ×5, first 2 shown]
	v_add_f64 v[72:73], v[26:27], v[32:33]
	v_add_f64 v[44:45], v[48:49], v[44:45]
	v_fma_f64 v[48:49], v[60:61], s[2:3], v[104:105]
	v_add_f64 v[86:87], v[66:67], -v[46:47]
	v_fma_f64 v[50:51], v[60:61], s[6:7], v[50:51]
	v_fma_f64 v[60:61], v[54:55], s[2:3], v[112:113]
	v_add_f64 v[38:39], v[84:85], v[38:39]
	v_add_f64 v[100:101], v[20:21], v[40:41]
	;; [unrolled: 1-line block ×3, first 2 shown]
	v_fma_f64 v[76:77], v[108:109], s[2:3], v[102:103]
	v_fma_f64 v[24:25], v[36:37], s[0:1], v[24:25]
	;; [unrolled: 1-line block ×6, first 2 shown]
	v_add_f64 v[74:75], v[74:75], v[22:23]
	v_add_f64 v[22:23], v[22:23], -v[42:43]
	v_add_f64 v[94:95], v[94:95], v[98:99]
	v_fma_f64 v[36:37], v[68:69], s[0:1], v[70:71]
	v_fma_f64 v[42:43], v[80:81], s[14:15], v[78:79]
	;; [unrolled: 1-line block ×3, first 2 shown]
	v_add_f64 v[98:99], v[106:107], v[110:111]
	v_fma_f64 v[34:35], v[72:73], s[0:1], v[52:53]
	v_fma_f64 v[54:55], v[54:55], s[6:7], v[62:63]
	v_add_f64 v[40:41], v[44:45], v[64:65]
	v_fma_f64 v[52:53], v[100:101], s[0:1], v[60:61]
	buffer_load_dword v60, off, s[60:63], 0 offset:500 ; 4-byte Folded Reload
	s_waitcnt vmcnt(0)
	ds_write_b128 v60, v[0:3]
	ds_write_b128 v60, v[4:7] offset:272
	ds_write_b128 v60, v[12:15] offset:544
	;; [unrolled: 1-line block ×4, first 2 shown]
	buffer_load_dword v0, off, s[60:63], 0 offset:524 ; 4-byte Folded Reload
	v_add_f64 v[46:47], v[74:75], v[46:47]
	v_add_f64 v[74:75], v[114:115], v[86:87]
	v_add_f64 v[86:87], v[22:23], v[116:117]
	v_add_f64 v[22:23], v[38:39], v[30:31]
	v_fma_f64 v[26:27], v[94:95], s[0:1], v[92:93]
	v_fma_f64 v[38:39], v[72:73], s[0:1], v[76:77]
	;; [unrolled: 1-line block ×10, first 2 shown]
	s_waitcnt vmcnt(0)
	ds_write_b128 v0, v[20:23]
	ds_write_b128 v0, v[24:27] offset:272
	ds_write_b128 v0, v[32:35] offset:544
	;; [unrolled: 1-line block ×4, first 2 shown]
	buffer_load_dword v0, off, s[60:63], 0 offset:504 ; 4-byte Folded Reload
	v_add_f64 v[42:43], v[46:47], v[66:67]
	v_fma_f64 v[46:47], v[74:75], s[0:1], v[62:63]
	v_fma_f64 v[54:55], v[86:87], s[0:1], v[84:85]
	;; [unrolled: 1-line block ×4, first 2 shown]
	s_waitcnt vmcnt(0)
	ds_write_b128 v0, v[40:43]
	ds_write_b128 v0, v[44:47] offset:272
	ds_write_b128 v0, v[52:55] offset:544
	;; [unrolled: 1-line block ×4, first 2 shown]
	s_and_saveexec_b32 s16, vcc_lo
	s_cbranch_execz .LBB0_9
; %bb.8:
	s_clause 0x1b
	buffer_load_dword v20, off, s[60:63], 0 offset:784
	buffer_load_dword v21, off, s[60:63], 0 offset:788
	;; [unrolled: 1-line block ×4, first 2 shown]
	buffer_load_dword v32, off, s[60:63], 0
	buffer_load_dword v33, off, s[60:63], 0 offset:4
	buffer_load_dword v34, off, s[60:63], 0 offset:8
	;; [unrolled: 1-line block ×23, first 2 shown]
	s_waitcnt vmcnt(22)
	v_mul_f64 v[0:1], v[22:23], v[32:33]
	s_waitcnt vmcnt(16)
	v_mul_f64 v[2:3], v[18:19], v[212:213]
	;; [unrolled: 2-line block ×4, first 2 shown]
	v_mul_f64 v[8:9], v[22:23], v[34:35]
	s_waitcnt vmcnt(0)
	v_mul_f64 v[10:11], v[26:27], v[38:39]
	v_mul_f64 v[12:13], v[18:19], v[214:215]
	;; [unrolled: 1-line block ×3, first 2 shown]
	v_fma_f64 v[0:1], v[20:21], v[34:35], -v[0:1]
	v_fma_f64 v[2:3], v[16:17], v[214:215], -v[2:3]
	;; [unrolled: 1-line block ×4, first 2 shown]
	v_fma_f64 v[8:9], v[20:21], v[32:33], v[8:9]
	v_fma_f64 v[10:11], v[24:25], v[36:37], v[10:11]
	v_fma_f64 v[12:13], v[16:17], v[212:213], v[12:13]
	v_fma_f64 v[14:15], v[28:29], v[40:41], v[14:15]
	v_add_f64 v[28:29], v[210:211], v[2:3]
	v_add_f64 v[16:17], v[2:3], v[4:5]
	;; [unrolled: 1-line block ×3, first 2 shown]
	v_add_f64 v[32:33], v[2:3], -v[4:5]
	v_add_f64 v[20:21], v[8:9], v[10:11]
	v_add_f64 v[24:25], v[8:9], -v[10:11]
	v_add_f64 v[26:27], v[12:13], -v[14:15]
	v_add_f64 v[30:31], v[208:209], v[12:13]
	v_add_f64 v[22:23], v[12:13], v[14:15]
	v_add_f64 v[34:35], v[0:1], -v[6:7]
	v_add_f64 v[36:37], v[0:1], -v[2:3]
	;; [unrolled: 1-line block ×9, first 2 shown]
	v_add_f64 v[0:1], v[28:29], v[0:1]
	v_fma_f64 v[16:17], v[16:17], -0.5, v[210:211]
	v_fma_f64 v[18:19], v[18:19], -0.5, v[210:211]
	;; [unrolled: 1-line block ×3, first 2 shown]
	v_add_f64 v[8:9], v[30:31], v[8:9]
	v_fma_f64 v[22:23], v[22:23], -0.5, v[208:209]
	v_add_f64 v[36:37], v[36:37], v[38:39]
	v_add_f64 v[38:39], v[2:3], v[40:41]
	v_add_f64 v[12:13], v[12:13], v[46:47]
	v_add_f64 v[40:41], v[42:43], v[44:45]
	v_add_f64 v[0:1], v[0:1], v[6:7]
	v_fma_f64 v[28:29], v[24:25], s[14:15], v[16:17]
	v_fma_f64 v[16:17], v[24:25], s[12:13], v[16:17]
	;; [unrolled: 1-line block ×6, first 2 shown]
	v_add_f64 v[6:7], v[8:9], v[10:11]
	v_fma_f64 v[50:51], v[34:35], s[14:15], v[22:23]
	v_fma_f64 v[22:23], v[34:35], s[12:13], v[22:23]
	v_add_f64 v[2:3], v[0:1], v[4:5]
	v_fma_f64 v[8:9], v[26:27], s[2:3], v[28:29]
	v_fma_f64 v[10:11], v[26:27], s[6:7], v[16:17]
	;; [unrolled: 1-line block ×6, first 2 shown]
	v_add_f64 v[0:1], v[6:7], v[14:15]
	v_fma_f64 v[26:27], v[32:33], s[2:3], v[50:51]
	v_fma_f64 v[22:23], v[32:33], s[6:7], v[22:23]
	;; [unrolled: 1-line block ×8, first 2 shown]
	s_clause 0x1
	buffer_load_dword v20, off, s[60:63], 0 offset:332
	buffer_load_dword v21, off, s[60:63], 0 offset:336
	v_fma_f64 v[8:9], v[40:41], s[0:1], v[26:27]
	v_fma_f64 v[4:5], v[40:41], s[0:1], v[22:23]
	s_waitcnt vmcnt(0)
	v_mad_u16 v20, 0x55, v20, v21
	v_mov_b32_e32 v21, 4
	v_lshlrev_b32_sdwa v20, v21, v20 dst_sel:DWORD dst_unused:UNUSED_PAD src0_sel:DWORD src1_sel:WORD_0
	ds_write_b128 v20, v[0:3]
	ds_write_b128 v20, v[16:19] offset:272
	ds_write_b128 v20, v[8:11] offset:544
	;; [unrolled: 1-line block ×4, first 2 shown]
.LBB0_9:
	s_or_b32 exec_lo, exec_lo, s16
	s_waitcnt lgkmcnt(0)
	s_barrier
	buffer_gl0_inv
	ds_read_b128 v[0:3], v160 offset:1360
	ds_read_b128 v[68:71], v160
	ds_read_b128 v[4:7], v160 offset:2720
	ds_read_b128 v[8:11], v160 offset:4080
	;; [unrolled: 1-line block ×15, first 2 shown]
	s_clause 0x13
	buffer_load_dword v78, off, s[60:63], 0 offset:436
	buffer_load_dword v79, off, s[60:63], 0 offset:440
	;; [unrolled: 1-line block ×20, first 2 shown]
	s_waitcnt lgkmcnt(16)
	v_mul_f64 v[24:25], v[134:135], v[2:3]
	v_mul_f64 v[26:27], v[134:135], v[0:1]
	s_mov_b32 s36, 0x5d8e7cdc
	s_mov_b32 s6, 0x2a9d6da3
	;; [unrolled: 1-line block ×10, first 2 shown]
	s_waitcnt lgkmcnt(4)
	v_mul_f64 v[118:119], v[130:131], v[48:49]
	s_waitcnt lgkmcnt(1)
	v_mul_f64 v[110:111], v[202:203], v[62:63]
	;; [unrolled: 2-line block ×3, first 2 shown]
	v_mul_f64 v[106:107], v[202:203], v[60:61]
	v_mul_f64 v[120:121], v[146:147], v[54:55]
	s_mov_b32 s17, 0xbfeca52d
	s_mov_b32 s21, 0xbfefdd0d
	;; [unrolled: 1-line block ×5, first 2 shown]
	v_fma_f64 v[76:77], v[132:133], v[0:1], v[24:25]
	v_fma_f64 v[2:3], v[132:133], v[2:3], -v[26:27]
	s_clause 0x7
	buffer_load_dword v132, off, s[60:63], 0 offset:388
	buffer_load_dword v133, off, s[60:63], 0 offset:392
	;; [unrolled: 1-line block ×8, first 2 shown]
	s_mov_b32 s49, 0xbfc7851a
	v_mul_f64 v[122:123], v[146:147], v[52:53]
	s_mov_b32 s12, 0x75d4884
	s_mov_b32 s18, 0x2b2883cd
	;; [unrolled: 1-line block ×9, first 2 shown]
	v_fma_f64 v[62:63], v[200:201], v[62:63], -v[106:107]
	s_mov_b32 s23, 0x3fb79ee6
	s_mov_b32 s29, 0xbfd183b1
	;; [unrolled: 1-line block ×21, first 2 shown]
	s_waitcnt vmcnt(24)
	v_mul_f64 v[72:73], v[80:81], v[6:7]
	v_mul_f64 v[74:75], v[80:81], v[4:5]
	s_waitcnt vmcnt(20)
	v_mul_f64 v[0:1], v[86:87], v[10:11]
	v_mul_f64 v[24:25], v[86:87], v[8:9]
	;; [unrolled: 3-line block ×3, first 2 shown]
	s_waitcnt vmcnt(8)
	v_mul_f64 v[86:87], v[138:139], v[20:21]
	v_fma_f64 v[64:65], v[204:205], v[64:65], v[102:103]
	v_fma_f64 v[72:73], v[78:79], v[4:5], v[72:73]
	v_fma_f64 v[74:75], v[78:79], v[6:7], -v[74:75]
	v_add_f64 v[4:5], v[68:69], v[76:77]
	v_add_f64 v[6:7], v[70:71], v[2:3]
	v_mul_f64 v[78:79], v[116:117], v[12:13]
	v_fma_f64 v[82:83], v[84:85], v[8:9], v[0:1]
	v_fma_f64 v[84:85], v[84:85], v[10:11], -v[24:25]
	v_mul_f64 v[8:9], v[142:143], v[16:17]
	s_waitcnt vmcnt(0)
	v_mul_f64 v[92:93], v[154:155], v[34:35]
	v_mul_f64 v[94:95], v[154:155], v[32:33]
	s_clause 0x3
	buffer_load_dword v154, off, s[60:63], 0 offset:468
	buffer_load_dword v155, off, s[60:63], 0 offset:472
	;; [unrolled: 1-line block ×4, first 2 shown]
	v_mul_f64 v[10:11], v[138:139], v[22:23]
	v_fma_f64 v[66:67], v[204:205], v[66:67], -v[80:81]
	v_fma_f64 v[80:81], v[114:115], v[12:13], v[26:27]
	v_mul_f64 v[88:89], v[134:135], v[30:31]
	v_mul_f64 v[116:117], v[130:131], v[50:51]
	;; [unrolled: 1-line block ×4, first 2 shown]
	v_add_f64 v[0:1], v[4:5], v[72:73]
	v_add_f64 v[4:5], v[6:7], v[74:75]
	v_mul_f64 v[6:7], v[142:143], v[18:19]
	v_fma_f64 v[78:79], v[114:115], v[14:15], -v[78:79]
	v_fma_f64 v[26:27], v[140:141], v[18:19], -v[8:9]
	v_fma_f64 v[8:9], v[132:133], v[28:29], v[88:89]
	v_fma_f64 v[28:29], v[128:129], v[48:49], v[116:117]
	v_add_f64 v[48:49], v[76:77], -v[64:65]
	v_fma_f64 v[12:13], v[132:133], v[30:31], -v[90:91]
	v_fma_f64 v[30:31], v[128:129], v[50:51], -v[118:119]
	v_add_f64 v[50:51], v[74:75], -v[62:63]
	v_add_f64 v[14:15], v[0:1], v[82:83]
	v_add_f64 v[114:115], v[4:5], v[84:85]
	v_fma_f64 v[24:25], v[140:141], v[16:17], v[6:7]
	v_fma_f64 v[16:17], v[136:137], v[20:21], v[10:11]
	v_fma_f64 v[20:21], v[136:137], v[22:23], -v[86:87]
	v_fma_f64 v[0:1], v[152:153], v[32:33], v[92:93]
	v_fma_f64 v[32:33], v[200:201], v[60:61], v[110:111]
	v_fma_f64 v[4:5], v[152:153], v[34:35], -v[94:95]
	v_add_f64 v[34:35], v[2:3], -v[66:67]
	v_add_f64 v[60:61], v[2:3], v[66:67]
	v_mul_f64 v[116:117], v[50:51], s[30:31]
	v_mul_f64 v[128:129], v[50:51], s[34:35]
	;; [unrolled: 1-line block ×3, first 2 shown]
	v_add_f64 v[86:87], v[114:115], v[78:79]
	v_mul_f64 v[88:89], v[34:35], s[16:17]
	v_mul_f64 v[92:93], v[34:35], s[20:21]
	;; [unrolled: 1-line block ×6, first 2 shown]
	v_fma_f64 v[146:147], v[48:49], s[14:15], v[90:91]
	v_fma_f64 v[90:91], v[48:49], s[16:17], v[90:91]
	;; [unrolled: 1-line block ×4, first 2 shown]
	v_add_f64 v[146:147], v[70:71], v[146:147]
	v_add_f64 v[90:91], v[70:71], v[90:91]
	;; [unrolled: 1-line block ×4, first 2 shown]
	s_waitcnt vmcnt(0)
	v_mul_f64 v[96:97], v[156:157], v[38:39]
	v_mul_f64 v[98:99], v[156:157], v[36:37]
	s_clause 0x7
	buffer_load_dword v156, off, s[60:63], 0 offset:484
	buffer_load_dword v157, off, s[60:63], 0 offset:488
	;; [unrolled: 1-line block ×8, first 2 shown]
	v_fma_f64 v[2:3], v[154:155], v[36:37], v[96:97]
	v_add_f64 v[36:37], v[14:15], v[80:81]
	v_fma_f64 v[6:7], v[154:155], v[38:39], -v[98:99]
	v_fma_f64 v[38:39], v[144:145], v[52:53], v[120:121]
	v_add_f64 v[52:53], v[74:75], v[62:63]
	v_mul_f64 v[74:75], v[34:35], s[6:7]
	v_mul_f64 v[96:97], v[34:35], s[26:27]
	;; [unrolled: 1-line block ×4, first 2 shown]
	v_add_f64 v[36:37], v[36:37], v[24:25]
	v_mul_f64 v[114:115], v[52:53], s[22:23]
	v_mul_f64 v[110:111], v[52:53], s[12:13]
	;; [unrolled: 1-line block ×4, first 2 shown]
	v_fma_f64 v[154:155], v[48:49], s[34:35], v[98:99]
	v_fma_f64 v[98:99], v[48:49], s[26:27], v[98:99]
	v_add_f64 v[36:37], v[36:37], v[16:17]
	v_add_f64 v[154:155], v[70:71], v[154:155]
	;; [unrolled: 1-line block ×6, first 2 shown]
	s_waitcnt vmcnt(4)
	v_mul_f64 v[100:101], v[158:159], v[42:43]
	s_waitcnt vmcnt(0)
	v_mul_f64 v[112:113], v[126:127], v[44:45]
	v_mul_f64 v[108:109], v[126:127], v[46:47]
	;; [unrolled: 1-line block ×4, first 2 shown]
	v_fma_f64 v[150:151], v[48:49], s[24:25], v[94:95]
	v_fma_f64 v[94:95], v[48:49], s[20:21], v[94:95]
	;; [unrolled: 1-line block ×5, first 2 shown]
	v_fma_f64 v[22:23], v[124:125], v[46:47], -v[112:113]
	v_add_f64 v[46:47], v[76:77], v[64:65]
	v_add_f64 v[76:77], v[86:87], v[26:27]
	v_fma_f64 v[14:15], v[156:157], v[42:43], -v[104:105]
	v_fma_f64 v[18:19], v[124:125], v[44:45], v[108:109]
	v_fma_f64 v[44:45], v[148:149], v[58:59], -v[130:131]
	v_mul_f64 v[58:59], v[34:35], s[36:37]
	v_mul_f64 v[100:101], v[34:35], s[30:31]
	;; [unrolled: 1-line block ×4, first 2 shown]
	v_fma_f64 v[40:41], v[144:145], v[54:55], -v[122:123]
	v_fma_f64 v[42:43], v[148:149], v[56:57], v[126:127]
	v_mul_f64 v[86:87], v[60:61], s[12:13]
	v_add_f64 v[54:55], v[72:73], v[32:33]
	v_add_f64 v[56:57], v[72:73], -v[32:33]
	v_mul_f64 v[72:73], v[60:61], s[38:39]
	v_mul_f64 v[60:61], v[60:61], s[52:53]
	;; [unrolled: 1-line block ×6, first 2 shown]
	v_add_f64 v[36:37], v[36:37], v[10:11]
	v_mul_f64 v[126:127], v[52:53], s[46:47]
	v_fma_f64 v[140:141], v[46:47], s[12:13], v[74:75]
	v_add_f64 v[76:77], v[76:77], v[20:21]
	v_fma_f64 v[74:75], v[46:47], s[12:13], -v[74:75]
	v_fma_f64 v[144:145], v[46:47], s[18:19], v[88:89]
	v_fma_f64 v[88:89], v[46:47], s[18:19], -v[88:89]
	v_fma_f64 v[136:137], v[46:47], s[38:39], v[58:59]
	;; [unrolled: 2-line block ×8, first 2 shown]
	v_fma_f64 v[86:87], v[48:49], s[6:7], v[86:87]
	v_fma_f64 v[138:139], v[48:49], s[2:3], v[72:73]
	v_add_f64 v[36:37], v[36:37], v[18:19]
	v_fma_f64 v[72:73], v[48:49], s[36:37], v[72:73]
	v_fma_f64 v[171:172], v[56:57], s[24:25], v[114:115]
	v_add_f64 v[76:77], v[76:77], v[12:13]
	v_fma_f64 v[114:115], v[56:57], s[20:21], v[114:115]
	v_mul_f64 v[130:131], v[52:53], s[28:29]
	v_mul_f64 v[50:51], v[50:51], s[2:3]
	;; [unrolled: 1-line block ×3, first 2 shown]
	v_fma_f64 v[167:168], v[48:49], s[54:55], v[60:61]
	v_fma_f64 v[48:49], v[48:49], s[48:49], v[60:61]
	;; [unrolled: 1-line block ×3, first 2 shown]
	v_fma_f64 v[108:109], v[54:55], s[12:13], -v[108:109]
	v_fma_f64 v[169:170], v[54:55], s[22:23], v[112:113]
	v_add_f64 v[136:137], v[68:69], v[136:137]
	v_add_f64 v[58:59], v[68:69], v[58:59]
	;; [unrolled: 1-line block ×3, first 2 shown]
	v_fma_f64 v[112:113], v[54:55], s[22:23], -v[112:113]
	v_fma_f64 v[173:174], v[54:55], s[42:43], v[116:117]
	v_fma_f64 v[175:176], v[56:57], s[44:45], v[118:119]
	v_fma_f64 v[116:117], v[54:55], s[42:43], -v[116:117]
	v_add_f64 v[86:87], v[70:71], v[86:87]
	v_add_f64 v[138:139], v[70:71], v[138:139]
	;; [unrolled: 1-line block ×4, first 2 shown]
	v_fma_f64 v[118:119], v[56:57], s[30:31], v[118:119]
	v_add_f64 v[46:47], v[76:77], v[4:5]
	v_fma_f64 v[76:77], v[56:57], s[0:1], v[110:111]
	v_fma_f64 v[110:111], v[56:57], s[6:7], v[110:111]
	;; [unrolled: 1-line block ×4, first 2 shown]
	v_fma_f64 v[120:121], v[54:55], s[52:53], -v[120:121]
	v_fma_f64 v[122:123], v[56:57], s[48:49], v[122:123]
	v_add_f64 v[142:143], v[70:71], v[142:143]
	v_add_f64 v[74:75], v[68:69], v[74:75]
	v_add_f64 v[144:145], v[68:69], v[144:145]
	v_add_f64 v[88:89], v[68:69], v[88:89]
	v_add_f64 v[148:149], v[68:69], v[148:149]
	v_add_f64 v[150:151], v[70:71], v[150:151]
	v_add_f64 v[92:93], v[68:69], v[92:93]
	v_add_f64 v[94:95], v[70:71], v[94:95]
	v_add_f64 v[152:153], v[68:69], v[152:153]
	v_add_f64 v[96:97], v[68:69], v[96:97]
	v_add_f64 v[86:87], v[114:115], v[86:87]
	v_add_f64 v[114:115], v[78:79], v[40:41]
	v_add_f64 v[78:79], v[78:79], -v[40:41]
	v_add_f64 v[36:37], v[36:37], v[38:39]
	v_add_f64 v[156:157], v[68:69], v[156:157]
	;; [unrolled: 1-line block ×12, first 2 shown]
	v_fma_f64 v[68:69], v[54:55], s[46:47], v[124:125]
	v_fma_f64 v[70:71], v[56:57], s[40:41], v[126:127]
	v_fma_f64 v[124:125], v[54:55], s[46:47], -v[124:125]
	v_fma_f64 v[126:127], v[56:57], s[50:51], v[126:127]
	v_add_f64 v[60:61], v[60:61], v[136:137]
	v_fma_f64 v[136:137], v[54:55], s[28:29], v[128:129]
	v_add_f64 v[76:77], v[76:77], v[138:139]
	;; [unrolled: 2-line block ×3, first 2 shown]
	v_add_f64 v[72:73], v[110:111], v[72:73]
	v_add_f64 v[108:109], v[169:170], v[140:141]
	v_fma_f64 v[110:111], v[54:55], s[28:29], -v[128:129]
	v_add_f64 v[46:47], v[46:47], v[14:15]
	v_fma_f64 v[128:129], v[56:57], s[34:35], v[130:131]
	v_fma_f64 v[130:131], v[54:55], s[18:19], v[132:133]
	;; [unrolled: 1-line block ×3, first 2 shown]
	v_fma_f64 v[132:133], v[54:55], s[18:19], -v[132:133]
	v_fma_f64 v[134:135], v[56:57], s[14:15], v[134:135]
	v_fma_f64 v[169:170], v[54:55], s[38:39], v[50:51]
	v_fma_f64 v[50:51], v[54:55], s[38:39], -v[50:51]
	v_fma_f64 v[54:55], v[56:57], s[36:37], v[52:53]
	v_fma_f64 v[52:53], v[56:57], s[2:3], v[52:53]
	v_add_f64 v[56:57], v[84:85], -v[44:45]
	v_add_f64 v[84:85], v[84:85], v[44:45]
	v_add_f64 v[36:37], v[36:37], v[42:43]
	;; [unrolled: 1-line block ×4, first 2 shown]
	v_add_f64 v[82:83], v[82:83], -v[42:43]
	v_add_f64 v[144:145], v[173:174], v[144:145]
	v_add_f64 v[146:147], v[175:176], v[146:147]
	;; [unrolled: 1-line block ×16, first 2 shown]
	v_mul_f64 v[173:174], v[56:57], s[16:17]
	v_mul_f64 v[175:176], v[84:85], s[18:19]
	v_mul_f64 v[116:117], v[56:57], s[30:31]
	v_mul_f64 v[118:119], v[84:85], s[42:43]
	v_mul_f64 v[177:178], v[56:57], s[54:55]
	v_mul_f64 v[120:121], v[56:57], s[34:35]
	v_mul_f64 v[122:123], v[84:85], s[28:29]
	v_mul_f64 v[68:69], v[84:85], s[12:13]
	v_mul_f64 v[70:71], v[56:57], s[36:37]
	v_mul_f64 v[124:125], v[84:85], s[38:39]
	v_mul_f64 v[126:127], v[56:57], s[20:21]
	v_add_f64 v[32:33], v[36:37], v[32:33]
	v_add_f64 v[46:47], v[46:47], v[30:31]
	v_mul_f64 v[179:180], v[84:85], s[52:53]
	v_mul_f64 v[156:157], v[84:85], s[22:23]
	;; [unrolled: 1-line block ×3, first 2 shown]
	v_add_f64 v[100:101], v[110:111], v[100:101]
	v_add_f64 v[102:103], v[128:129], v[102:103]
	v_add_f64 v[140:141], v[140:141], v[163:164]
	v_add_f64 v[104:105], v[132:133], v[104:105]
	v_add_f64 v[106:107], v[134:135], v[106:107]
	v_add_f64 v[112:113], v[80:81], v[38:39]
	v_fma_f64 v[158:159], v[171:172], s[18:19], v[173:174]
	v_fma_f64 v[110:111], v[82:83], s[14:15], v[175:176]
	;; [unrolled: 1-line block ×4, first 2 shown]
	v_fma_f64 v[116:117], v[171:172], s[42:43], -v[116:117]
	v_fma_f64 v[128:129], v[171:172], s[52:53], v[177:178]
	v_fma_f64 v[163:164], v[171:172], s[28:29], v[120:121]
	;; [unrolled: 1-line block ×3, first 2 shown]
	v_fma_f64 v[120:121], v[171:172], s[28:29], -v[120:121]
	v_fma_f64 v[122:123], v[82:83], s[34:35], v[122:123]
	v_fma_f64 v[181:182], v[82:83], s[0:1], v[68:69]
	v_fma_f64 v[173:174], v[171:172], s[18:19], -v[173:174]
	v_add_f64 v[40:41], v[46:47], v[40:41]
	v_mul_f64 v[46:47], v[56:57], s[0:1]
	v_mul_f64 v[56:57], v[56:57], s[40:41]
	v_add_f64 v[130:131], v[130:131], v[161:162]
	v_add_f64 v[165:166], v[169:170], v[165:166]
	v_fma_f64 v[169:170], v[82:83], s[6:7], v[68:69]
	v_fma_f64 v[36:37], v[171:172], s[38:39], v[70:71]
	v_fma_f64 v[183:184], v[171:172], s[38:39], -v[70:71]
	v_add_f64 v[68:69], v[32:33], v[64:65]
	v_add_f64 v[32:33], v[80:81], -v[38:39]
	v_mul_f64 v[38:39], v[78:79], s[20:21]
	v_fma_f64 v[80:81], v[171:172], s[22:23], v[126:127]
	v_fma_f64 v[161:162], v[82:83], s[48:49], v[179:180]
	;; [unrolled: 1-line block ×3, first 2 shown]
	v_add_f64 v[34:35], v[50:51], v[34:35]
	v_add_f64 v[48:49], v[52:53], v[48:49]
	;; [unrolled: 1-line block ×9, first 2 shown]
	v_fma_f64 v[44:45], v[82:83], s[44:45], v[118:119]
	v_fma_f64 v[118:119], v[82:83], s[30:31], v[118:119]
	;; [unrolled: 1-line block ×3, first 2 shown]
	v_fma_f64 v[46:47], v[171:172], s[12:13], -v[46:47]
	v_add_f64 v[92:93], v[120:121], v[92:93]
	v_add_f64 v[94:95], v[122:123], v[94:95]
	v_fma_f64 v[116:117], v[82:83], s[24:25], v[156:157]
	v_fma_f64 v[120:121], v[171:172], s[22:23], -v[126:127]
	v_fma_f64 v[122:123], v[82:83], s[20:21], v[156:157]
	v_fma_f64 v[126:127], v[171:172], s[46:47], v[56:57]
	;; [unrolled: 1-line block ×3, first 2 shown]
	v_mul_f64 v[132:133], v[78:79], s[34:35]
	v_fma_f64 v[56:57], v[171:172], s[46:47], -v[56:57]
	v_fma_f64 v[177:178], v[171:172], s[52:53], -v[177:178]
	v_add_f64 v[54:55], v[54:55], v[167:168]
	v_add_f64 v[58:59], v[173:174], v[58:59]
	;; [unrolled: 1-line block ×4, first 2 shown]
	v_mul_f64 v[130:131], v[78:79], s[2:3]
	v_mul_f64 v[136:137], v[114:115], s[38:39]
	v_add_f64 v[42:43], v[42:43], v[108:109]
	v_add_f64 v[40:41], v[40:41], v[62:63]
	v_fma_f64 v[62:63], v[82:83], s[2:3], v[124:125]
	v_fma_f64 v[124:125], v[82:83], s[36:37], v[124:125]
	v_add_f64 v[74:75], v[118:119], v[86:87]
	v_add_f64 v[64:65], v[134:135], v[152:153]
	;; [unrolled: 1-line block ×4, first 2 shown]
	v_mul_f64 v[98:99], v[78:79], s[48:49]
	v_mul_f64 v[118:119], v[114:115], s[52:53]
	;; [unrolled: 1-line block ×3, first 2 shown]
	v_fma_f64 v[82:83], v[82:83], s[40:41], v[84:85]
	v_add_f64 v[84:85], v[183:184], v[100:101]
	v_add_f64 v[86:87], v[161:162], v[146:147]
	;; [unrolled: 1-line block ×6, first 2 shown]
	v_fma_f64 v[122:123], v[112:113], s[28:29], v[132:133]
	v_add_f64 v[34:35], v[56:57], v[34:35]
	v_mul_f64 v[56:57], v[78:79], s[16:17]
	v_add_f64 v[88:89], v[177:178], v[88:89]
	v_add_f64 v[90:91], v[179:180], v[90:91]
	;; [unrolled: 1-line block ×3, first 2 shown]
	v_mul_f64 v[40:41], v[114:115], s[22:23]
	v_add_f64 v[100:101], v[124:125], v[102:103]
	v_fma_f64 v[102:103], v[112:113], s[22:23], v[38:39]
	v_fma_f64 v[38:39], v[112:113], s[22:23], -v[38:39]
	v_add_f64 v[62:63], v[62:63], v[138:139]
	v_add_f64 v[108:109], v[163:164], v[148:149]
	v_fma_f64 v[138:139], v[112:113], s[52:53], v[98:99]
	v_fma_f64 v[140:141], v[32:33], s[54:55], v[118:119]
	v_fma_f64 v[98:99], v[112:113], s[52:53], -v[98:99]
	v_fma_f64 v[118:119], v[32:33], s[48:49], v[118:119]
	v_fma_f64 v[126:127], v[32:33], s[26:27], v[134:135]
	v_add_f64 v[48:49], v[82:83], v[48:49]
	v_mul_f64 v[82:83], v[114:115], s[18:19]
	v_add_f64 v[54:55], v[128:129], v[54:55]
	v_mul_f64 v[128:129], v[78:79], s[40:41]
	v_add_f64 v[66:67], v[169:170], v[154:155]
	v_add_f64 v[76:77], v[122:123], v[76:77]
	v_mul_f64 v[122:123], v[78:79], s[44:45]
	v_mul_f64 v[78:79], v[78:79], s[0:1]
	v_add_f64 v[44:45], v[44:45], v[142:143]
	v_fma_f64 v[124:125], v[32:33], s[24:25], v[40:41]
	v_fma_f64 v[40:41], v[32:33], s[20:21], v[40:41]
	v_add_f64 v[50:51], v[102:103], v[50:51]
	v_add_f64 v[38:39], v[38:39], v[58:59]
	v_fma_f64 v[58:59], v[112:113], s[28:29], -v[132:133]
	v_fma_f64 v[102:103], v[112:113], s[38:39], v[130:131]
	v_mul_f64 v[132:133], v[114:115], s[46:47]
	v_fma_f64 v[130:131], v[112:113], s[38:39], -v[130:131]
	v_add_f64 v[72:73], v[98:99], v[72:73]
	v_add_f64 v[74:75], v[118:119], v[74:75]
	v_add_f64 v[86:87], v[126:127], v[86:87]
	v_add_f64 v[98:99], v[26:27], -v[30:31]
	v_add_f64 v[26:27], v[26:27], v[30:31]
	v_fma_f64 v[30:31], v[112:113], s[18:19], v[56:57]
	v_fma_f64 v[118:119], v[32:33], s[14:15], v[82:83]
	v_mul_f64 v[126:127], v[114:115], s[42:43]
	v_fma_f64 v[56:57], v[112:113], s[18:19], -v[56:57]
	v_fma_f64 v[82:83], v[32:33], s[16:17], v[82:83]
	v_add_f64 v[42:43], v[138:139], v[42:43]
	v_add_f64 v[44:45], v[140:141], v[44:45]
	;; [unrolled: 1-line block ×4, first 2 shown]
	v_fma_f64 v[60:61], v[32:33], s[34:35], v[134:135]
	v_fma_f64 v[124:125], v[32:33], s[36:37], v[136:137]
	;; [unrolled: 1-line block ×3, first 2 shown]
	v_add_f64 v[58:59], v[58:59], v[88:89]
	v_add_f64 v[88:89], v[102:103], v[108:109]
	v_mul_f64 v[102:103], v[114:115], s[12:13]
	v_fma_f64 v[108:109], v[112:113], s[46:47], v[128:129]
	v_add_f64 v[92:93], v[130:131], v[92:93]
	v_fma_f64 v[114:115], v[112:113], s[46:47], -v[128:129]
	v_add_f64 v[128:129], v[24:25], v[28:29]
	v_add_f64 v[24:25], v[24:25], -v[28:29]
	v_mul_f64 v[28:29], v[98:99], s[26:27]
	v_mul_f64 v[130:131], v[26:27], s[28:29]
	v_add_f64 v[30:31], v[30:31], v[64:65]
	v_add_f64 v[64:65], v[118:119], v[66:67]
	v_fma_f64 v[66:67], v[112:113], s[42:43], v[122:123]
	v_fma_f64 v[118:119], v[32:33], s[30:31], v[126:127]
	v_add_f64 v[46:47], v[56:57], v[46:47]
	v_add_f64 v[56:57], v[82:83], v[96:97]
	v_mul_f64 v[82:83], v[98:99], s[50:51]
	v_mul_f64 v[96:97], v[26:27], s[46:47]
	v_fma_f64 v[122:123], v[112:113], s[42:43], -v[122:123]
	v_add_f64 v[60:61], v[60:61], v[90:91]
	v_add_f64 v[90:91], v[124:125], v[110:111]
	v_fma_f64 v[110:111], v[32:33], s[50:51], v[132:133]
	v_fma_f64 v[124:125], v[32:33], s[40:41], v[132:133]
	v_add_f64 v[94:95], v[134:135], v[94:95]
	v_fma_f64 v[126:127], v[32:33], s[44:45], v[126:127]
	v_fma_f64 v[132:133], v[112:113], s[12:13], v[78:79]
	v_fma_f64 v[134:135], v[32:33], s[6:7], v[102:103]
	v_add_f64 v[36:37], v[108:109], v[36:37]
	v_fma_f64 v[78:79], v[112:113], s[12:13], -v[78:79]
	v_mul_f64 v[108:109], v[98:99], s[0:1]
	v_fma_f64 v[32:33], v[32:33], s[0:1], v[102:103]
	v_add_f64 v[84:85], v[114:115], v[84:85]
	v_fma_f64 v[102:103], v[128:129], s[28:29], v[28:29]
	v_fma_f64 v[112:113], v[24:25], s[34:35], v[130:131]
	v_fma_f64 v[28:29], v[128:129], s[28:29], -v[28:29]
	v_fma_f64 v[114:115], v[24:25], s[26:27], v[130:131]
	v_add_f64 v[66:67], v[66:67], v[80:81]
	v_add_f64 v[80:81], v[118:119], v[116:117]
	v_mul_f64 v[116:117], v[98:99], s[16:17]
	v_mul_f64 v[118:119], v[26:27], s[18:19]
	v_fma_f64 v[130:131], v[24:25], s[40:41], v[96:97]
	v_add_f64 v[104:105], v[122:123], v[104:105]
	v_fma_f64 v[96:97], v[24:25], s[50:51], v[96:97]
	v_add_f64 v[62:63], v[110:111], v[62:63]
	v_mul_f64 v[110:111], v[26:27], s[12:13]
	v_add_f64 v[100:101], v[124:125], v[100:101]
	v_fma_f64 v[124:125], v[128:129], s[46:47], v[82:83]
	v_fma_f64 v[82:83], v[128:129], s[46:47], -v[82:83]
	v_add_f64 v[106:107], v[126:127], v[106:107]
	v_mul_f64 v[126:127], v[26:27], s[52:53]
	v_add_f64 v[34:35], v[78:79], v[34:35]
	v_fma_f64 v[78:79], v[128:129], s[12:13], v[108:109]
	v_add_f64 v[32:33], v[32:33], v[48:49]
	v_mul_f64 v[48:49], v[98:99], s[48:49]
	v_add_f64 v[50:51], v[102:103], v[50:51]
	v_add_f64 v[52:53], v[112:113], v[52:53]
	;; [unrolled: 1-line block ×4, first 2 shown]
	v_fma_f64 v[40:41], v[128:129], s[12:13], -v[108:109]
	v_mul_f64 v[112:113], v[98:99], s[24:25]
	v_fma_f64 v[108:109], v[128:129], s[18:19], v[116:117]
	v_mul_f64 v[114:115], v[26:27], s[22:23]
	v_fma_f64 v[116:117], v[128:129], s[18:19], -v[116:117]
	v_add_f64 v[120:121], v[132:133], v[120:121]
	v_add_f64 v[74:75], v[96:97], v[74:75]
	v_mul_f64 v[96:97], v[98:99], s[36:37]
	v_fma_f64 v[122:123], v[24:25], s[6:7], v[110:111]
	v_fma_f64 v[102:103], v[24:25], s[0:1], v[110:111]
	;; [unrolled: 1-line block ×3, first 2 shown]
	v_add_f64 v[72:73], v[82:83], v[72:73]
	v_add_f64 v[82:83], v[20:21], -v[22:23]
	v_add_f64 v[42:43], v[124:125], v[42:43]
	v_add_f64 v[20:21], v[20:21], v[22:23]
	;; [unrolled: 1-line block ×3, first 2 shown]
	v_fma_f64 v[124:125], v[24:25], s[48:49], v[126:127]
	v_fma_f64 v[22:23], v[128:129], s[52:53], v[48:49]
	v_fma_f64 v[48:49], v[128:129], s[52:53], -v[48:49]
	v_fma_f64 v[118:119], v[24:25], s[16:17], v[118:119]
	v_add_f64 v[44:45], v[130:131], v[44:45]
	v_add_f64 v[54:55], v[134:135], v[54:55]
	;; [unrolled: 1-line block ×5, first 2 shown]
	v_fma_f64 v[86:87], v[24:25], s[54:55], v[126:127]
	v_mul_f64 v[122:123], v[26:27], s[38:39]
	v_add_f64 v[58:59], v[102:103], v[60:61]
	v_add_f64 v[60:61], v[108:109], v[88:89]
	;; [unrolled: 1-line block ×3, first 2 shown]
	v_mul_f64 v[90:91], v[98:99], s[30:31]
	v_mul_f64 v[26:27], v[26:27], s[42:43]
	v_fma_f64 v[98:99], v[128:129], s[22:23], v[112:113]
	v_fma_f64 v[102:103], v[24:25], s[20:21], v[114:115]
	v_fma_f64 v[108:109], v[128:129], s[22:23], -v[112:113]
	v_add_f64 v[110:111], v[16:17], v[18:19]
	v_mul_f64 v[112:113], v[82:83], s[30:31]
	v_fma_f64 v[114:115], v[24:25], s[24:25], v[114:115]
	v_add_f64 v[16:17], v[16:17], -v[18:19]
	v_mul_f64 v[18:19], v[20:21], s[42:43]
	v_add_f64 v[22:23], v[22:23], v[30:31]
	v_add_f64 v[46:47], v[48:49], v[46:47]
	;; [unrolled: 1-line block ×3, first 2 shown]
	v_mul_f64 v[56:57], v[82:83], s[34:35]
	v_mul_f64 v[116:117], v[20:21], s[28:29]
	v_add_f64 v[94:95], v[118:119], v[94:95]
	v_add_f64 v[30:31], v[86:87], v[64:65]
	v_fma_f64 v[64:65], v[128:129], s[38:39], v[96:97]
	v_fma_f64 v[86:87], v[24:25], s[2:3], v[122:123]
	;; [unrolled: 1-line block ×3, first 2 shown]
	v_fma_f64 v[96:97], v[128:129], s[38:39], -v[96:97]
	v_fma_f64 v[122:123], v[128:129], s[42:43], v[90:91]
	v_fma_f64 v[124:125], v[24:25], s[44:45], v[26:27]
	v_add_f64 v[36:37], v[98:99], v[36:37]
	v_add_f64 v[62:63], v[102:103], v[62:63]
	v_fma_f64 v[90:91], v[128:129], s[42:43], -v[90:91]
	v_fma_f64 v[24:25], v[24:25], s[30:31], v[26:27]
	v_mul_f64 v[26:27], v[82:83], s[36:37]
	v_mul_f64 v[98:99], v[20:21], s[38:39]
	v_fma_f64 v[102:103], v[110:111], s[42:43], v[112:113]
	v_add_f64 v[84:85], v[108:109], v[84:85]
	v_add_f64 v[100:101], v[114:115], v[100:101]
	v_fma_f64 v[108:109], v[16:17], s[44:45], v[18:19]
	v_fma_f64 v[112:113], v[110:111], s[42:43], -v[112:113]
	v_fma_f64 v[18:19], v[16:17], s[30:31], v[18:19]
	v_fma_f64 v[114:115], v[110:111], s[28:29], v[56:57]
	;; [unrolled: 1-line block ×3, first 2 shown]
	v_fma_f64 v[56:57], v[110:111], s[28:29], -v[56:57]
	v_fma_f64 v[116:117], v[16:17], s[34:35], v[116:117]
	v_add_f64 v[64:65], v[64:65], v[66:67]
	v_add_f64 v[66:67], v[86:87], v[80:81]
	v_mul_f64 v[80:81], v[82:83], s[40:41]
	v_mul_f64 v[86:87], v[20:21], s[46:47]
	v_add_f64 v[96:97], v[96:97], v[104:105]
	v_add_f64 v[104:105], v[118:119], v[106:107]
	v_mul_f64 v[118:119], v[20:21], s[22:23]
	v_add_f64 v[106:107], v[122:123], v[120:121]
	v_add_f64 v[34:35], v[90:91], v[34:35]
	;; [unrolled: 1-line block ×3, first 2 shown]
	v_fma_f64 v[32:33], v[110:111], s[38:39], v[26:27]
	v_fma_f64 v[90:91], v[16:17], s[2:3], v[98:99]
	v_add_f64 v[50:51], v[102:103], v[50:51]
	v_mul_f64 v[102:103], v[82:83], s[24:25]
	v_fma_f64 v[26:27], v[110:111], s[38:39], -v[26:27]
	v_add_f64 v[52:53], v[108:109], v[52:53]
	v_add_f64 v[28:29], v[112:113], v[28:29]
	;; [unrolled: 1-line block ×3, first 2 shown]
	v_fma_f64 v[38:39], v[16:17], s[36:37], v[98:99]
	v_add_f64 v[42:43], v[114:115], v[42:43]
	v_mul_f64 v[112:113], v[82:83], s[6:7]
	v_mul_f64 v[114:115], v[20:21], s[12:13]
	v_add_f64 v[56:57], v[56:57], v[72:73]
	v_add_f64 v[72:73], v[116:117], v[74:75]
	v_fma_f64 v[98:99], v[110:111], s[46:47], v[80:81]
	v_fma_f64 v[108:109], v[16:17], s[50:51], v[86:87]
	v_fma_f64 v[80:81], v[110:111], s[46:47], -v[80:81]
	v_fma_f64 v[86:87], v[16:17], s[40:41], v[86:87]
	v_add_f64 v[74:75], v[12:13], -v[14:15]
	v_add_f64 v[12:13], v[12:13], v[14:15]
	v_mul_f64 v[116:117], v[20:21], s[52:53]
	v_mul_f64 v[20:21], v[20:21], s[18:19]
	v_add_f64 v[14:15], v[32:33], v[76:77]
	v_add_f64 v[32:33], v[90:91], v[78:79]
	v_mul_f64 v[76:77], v[82:83], s[48:49]
	v_fma_f64 v[78:79], v[110:111], s[22:23], v[102:103]
	v_fma_f64 v[102:103], v[110:111], s[22:23], -v[102:103]
	v_fma_f64 v[90:91], v[16:17], s[20:21], v[118:119]
	v_fma_f64 v[118:119], v[16:17], s[24:25], v[118:119]
	v_add_f64 v[26:27], v[26:27], v[40:41]
	v_add_f64 v[38:39], v[38:39], v[58:59]
	;; [unrolled: 1-line block ×6, first 2 shown]
	v_mul_f64 v[60:61], v[82:83], s[14:15]
	v_fma_f64 v[82:83], v[110:111], s[12:13], v[112:113]
	v_fma_f64 v[88:89], v[16:17], s[0:1], v[114:115]
	v_add_f64 v[80:81], v[80:81], v[92:93]
	v_add_f64 v[86:87], v[86:87], v[94:95]
	;; [unrolled: 1-line block ×3, first 2 shown]
	v_add_f64 v[8:9], v[8:9], -v[10:11]
	v_mul_f64 v[10:11], v[74:75], s[40:41]
	v_mul_f64 v[94:95], v[12:13], s[46:47]
	v_fma_f64 v[98:99], v[110:111], s[12:13], -v[112:113]
	v_fma_f64 v[108:109], v[16:17], s[6:7], v[114:115]
	v_add_f64 v[22:23], v[78:79], v[22:23]
	v_add_f64 v[46:47], v[102:103], v[46:47]
	v_fma_f64 v[78:79], v[16:17], s[54:55], v[116:117]
	v_mul_f64 v[102:103], v[74:75], s[14:15]
	v_fma_f64 v[112:113], v[110:111], s[52:53], v[76:77]
	v_add_f64 v[30:31], v[90:91], v[30:31]
	v_add_f64 v[48:49], v[118:119], v[48:49]
	v_fma_f64 v[76:77], v[110:111], s[52:53], -v[76:77]
	v_fma_f64 v[90:91], v[16:17], s[48:49], v[116:117]
	v_mul_f64 v[114:115], v[12:13], s[18:19]
	v_fma_f64 v[118:119], v[16:17], s[16:17], v[20:21]
	v_fma_f64 v[116:117], v[110:111], s[18:19], v[60:61]
	v_add_f64 v[36:37], v[82:83], v[36:37]
	v_add_f64 v[62:63], v[88:89], v[62:63]
	v_fma_f64 v[60:61], v[110:111], s[18:19], -v[60:61]
	v_mul_f64 v[82:83], v[74:75], s[20:21]
	v_mul_f64 v[88:89], v[12:13], s[22:23]
	v_fma_f64 v[16:17], v[16:17], s[14:15], v[20:21]
	v_fma_f64 v[20:21], v[92:93], s[46:47], v[10:11]
	;; [unrolled: 1-line block ×3, first 2 shown]
	v_add_f64 v[84:85], v[98:99], v[84:85]
	v_add_f64 v[98:99], v[108:109], v[100:101]
	v_fma_f64 v[10:11], v[92:93], s[46:47], -v[10:11]
	v_mul_f64 v[100:101], v[74:75], s[44:45]
	v_mul_f64 v[108:109], v[12:13], s[42:43]
	v_add_f64 v[66:67], v[78:79], v[66:67]
	v_fma_f64 v[78:79], v[8:9], s[40:41], v[94:95]
	v_fma_f64 v[94:95], v[92:93], s[18:19], v[102:103]
	v_fma_f64 v[102:103], v[92:93], s[18:19], -v[102:103]
	v_add_f64 v[76:77], v[76:77], v[96:97]
	v_add_f64 v[90:91], v[90:91], v[104:105]
	v_fma_f64 v[96:97], v[8:9], s[16:17], v[114:115]
	v_add_f64 v[64:65], v[112:113], v[64:65]
	v_add_f64 v[104:105], v[116:117], v[106:107]
	v_fma_f64 v[106:107], v[8:9], s[14:15], v[114:115]
	;; [unrolled: 3-line block ×3, first 2 shown]
	v_fma_f64 v[112:113], v[8:9], s[24:25], v[88:89]
	v_add_f64 v[16:17], v[16:17], v[24:25]
	v_add_f64 v[20:21], v[20:21], v[50:51]
	;; [unrolled: 1-line block ×3, first 2 shown]
	v_mul_f64 v[50:51], v[74:75], s[36:37]
	v_fma_f64 v[52:53], v[92:93], s[22:23], -v[82:83]
	v_fma_f64 v[82:83], v[8:9], s[20:21], v[88:89]
	v_mul_f64 v[110:111], v[12:13], s[38:39]
	v_add_f64 v[10:11], v[10:11], v[28:29]
	v_fma_f64 v[28:29], v[92:93], s[42:43], v[100:101]
	v_fma_f64 v[88:89], v[8:9], s[30:31], v[108:109]
	v_add_f64 v[78:79], v[78:79], v[18:19]
	v_fma_f64 v[18:19], v[92:93], s[42:43], -v[100:101]
	v_fma_f64 v[100:101], v[8:9], s[44:45], v[108:109]
	v_add_f64 v[42:43], v[94:95], v[42:43]
	v_mul_f64 v[94:95], v[74:75], s[48:49]
	v_add_f64 v[56:57], v[102:103], v[56:57]
	v_add_f64 v[102:103], v[4:5], -v[6:7]
	v_add_f64 v[6:7], v[4:5], v[6:7]
	v_add_f64 v[44:45], v[96:97], v[44:45]
	v_mul_f64 v[96:97], v[12:13], s[52:53]
	v_add_f64 v[72:73], v[106:107], v[72:73]
	v_add_f64 v[14:15], v[60:61], v[14:15]
	v_mul_f64 v[60:61], v[12:13], s[12:13]
	v_mul_f64 v[12:13], v[12:13], s[28:29]
	;; [unrolled: 1-line block ×3, first 2 shown]
	v_fma_f64 v[106:107], v[92:93], s[38:39], v[50:51]
	v_add_f64 v[26:27], v[52:53], v[26:27]
	v_add_f64 v[82:83], v[82:83], v[38:39]
	v_mul_f64 v[38:39], v[74:75], s[26:27]
	v_fma_f64 v[52:53], v[8:9], s[2:3], v[110:111]
	v_add_f64 v[28:29], v[28:29], v[40:41]
	v_add_f64 v[40:41], v[88:89], v[58:59]
	v_add_f64 v[108:109], v[0:1], -v[2:3]
	v_add_f64 v[58:59], v[18:19], v[80:81]
	v_add_f64 v[74:75], v[100:101], v[86:87]
	v_fma_f64 v[18:19], v[92:93], s[38:39], -v[50:51]
	v_fma_f64 v[80:81], v[92:93], s[52:53], v[94:95]
	v_fma_f64 v[88:89], v[92:93], s[52:53], -v[94:95]
	v_add_f64 v[94:95], v[0:1], v[2:3]
	v_mul_f64 v[100:101], v[102:103], s[48:49]
	v_fma_f64 v[50:51], v[8:9], s[36:37], v[110:111]
	v_mul_f64 v[110:111], v[6:7], s[52:53]
	v_add_f64 v[32:33], v[112:113], v[32:33]
	v_fma_f64 v[86:87], v[8:9], s[54:55], v[96:97]
	v_fma_f64 v[96:97], v[8:9], s[48:49], v[96:97]
	v_mul_f64 v[112:113], v[102:103], s[2:3]
	v_mul_f64 v[116:117], v[102:103], s[40:41]
	v_add_f64 v[22:23], v[106:107], v[22:23]
	v_mul_f64 v[118:119], v[6:7], s[46:47]
	v_fma_f64 v[2:3], v[8:9], s[6:7], v[60:61]
	v_fma_f64 v[106:107], v[92:93], s[28:29], v[38:39]
	v_add_f64 v[30:31], v[52:53], v[30:31]
	v_fma_f64 v[52:53], v[8:9], s[34:35], v[12:13]
	v_fma_f64 v[38:39], v[92:93], s[28:29], -v[38:39]
	v_fma_f64 v[60:61], v[8:9], s[0:1], v[60:61]
	v_mul_f64 v[114:115], v[6:7], s[38:39]
	v_fma_f64 v[0:1], v[92:93], s[12:13], v[4:5]
	v_fma_f64 v[8:9], v[8:9], s[26:27], v[12:13]
	v_add_f64 v[46:47], v[18:19], v[46:47]
	v_fma_f64 v[4:5], v[92:93], s[12:13], -v[4:5]
	v_mul_f64 v[120:121], v[6:7], s[28:29]
	v_fma_f64 v[12:13], v[94:95], s[52:53], v[100:101]
	v_add_f64 v[92:93], v[50:51], v[48:49]
	v_fma_f64 v[18:19], v[108:109], s[54:55], v[110:111]
	v_add_f64 v[48:49], v[80:81], v[36:37]
	v_fma_f64 v[36:37], v[94:95], s[52:53], -v[100:101]
	v_add_f64 v[50:51], v[86:87], v[62:63]
	v_add_f64 v[80:81], v[96:97], v[98:99]
	v_fma_f64 v[86:87], v[94:95], s[38:39], v[112:113]
	v_mul_f64 v[98:99], v[6:7], s[12:13]
	v_fma_f64 v[96:97], v[108:109], s[50:51], v[118:119]
	v_add_f64 v[62:63], v[88:89], v[84:85]
	v_add_f64 v[66:67], v[2:3], v[66:67]
	;; [unrolled: 1-line block ×3, first 2 shown]
	v_fma_f64 v[52:53], v[94:95], s[46:47], v[116:117]
	v_add_f64 v[38:39], v[38:39], v[34:35]
	v_mul_f64 v[34:35], v[102:103], s[0:1]
	v_add_f64 v[84:85], v[60:61], v[90:91]
	v_add_f64 v[60:61], v[106:107], v[104:105]
	v_fma_f64 v[88:89], v[108:109], s[36:37], v[114:115]
	v_mul_f64 v[104:105], v[102:103], s[30:31]
	v_mul_f64 v[106:107], v[6:7], s[42:43]
	v_add_f64 v[64:65], v[0:1], v[64:65]
	v_fma_f64 v[90:91], v[94:95], s[38:39], -v[112:113]
	v_add_f64 v[0:1], v[12:13], v[20:21]
	v_mul_f64 v[20:21], v[102:103], s[14:15]
	v_mul_f64 v[112:113], v[6:7], s[18:19]
	v_add_f64 v[2:3], v[18:19], v[24:25]
	v_mul_f64 v[24:25], v[102:103], s[26:27]
	v_add_f64 v[76:77], v[4:5], v[76:77]
	v_add_f64 v[4:5], v[36:37], v[10:11]
	v_mul_f64 v[36:37], v[102:103], s[24:25]
	v_mul_f64 v[6:7], v[6:7], s[22:23]
	v_add_f64 v[100:101], v[8:9], v[16:17]
	v_add_f64 v[8:9], v[86:87], v[42:43]
	;; [unrolled: 1-line block ×4, first 2 shown]
	v_fma_f64 v[14:15], v[94:95], s[46:47], -v[116:117]
	v_fma_f64 v[32:33], v[94:95], s[12:13], v[34:35]
	v_fma_f64 v[42:43], v[108:109], s[6:7], v[98:99]
	v_fma_f64 v[34:35], v[94:95], s[12:13], -v[34:35]
	v_add_f64 v[10:11], v[88:89], v[44:45]
	v_fma_f64 v[44:45], v[94:95], s[42:43], v[104:105]
	v_fma_f64 v[52:53], v[108:109], s[44:45], v[106:107]
	;; [unrolled: 1-line block ×3, first 2 shown]
	v_add_f64 v[12:13], v[90:91], v[56:57]
	v_fma_f64 v[56:57], v[94:95], s[42:43], -v[104:105]
	v_fma_f64 v[88:89], v[94:95], s[18:19], v[20:21]
	v_fma_f64 v[90:91], v[108:109], s[16:17], v[112:113]
	;; [unrolled: 1-line block ×5, first 2 shown]
	v_fma_f64 v[96:97], v[94:95], s[18:19], -v[20:21]
	v_fma_f64 v[116:117], v[94:95], s[22:23], v[36:37]
	v_fma_f64 v[122:123], v[108:109], s[20:21], v[6:7]
	v_fma_f64 v[114:115], v[94:95], s[28:29], -v[24:25]
	v_fma_f64 v[94:95], v[94:95], s[22:23], -v[36:37]
	v_fma_f64 v[6:7], v[108:109], s[24:25], v[6:7]
	v_fma_f64 v[120:121], v[108:109], s[26:27], v[120:121]
	;; [unrolled: 1-line block ×6, first 2 shown]
	v_add_f64 v[20:21], v[14:15], v[26:27]
	v_add_f64 v[24:25], v[32:33], v[28:29]
	;; [unrolled: 1-line block ×24, first 2 shown]
	ds_write_b128 v160, v[68:71]
	ds_write_b128 v160, v[0:3] offset:1360
	ds_write_b128 v160, v[8:11] offset:2720
	ds_write_b128 v160, v[16:19] offset:4080
	ds_write_b128 v160, v[24:27] offset:5440
	ds_write_b128 v160, v[32:35] offset:6800
	ds_write_b128 v160, v[40:43] offset:8160
	ds_write_b128 v160, v[48:51] offset:9520
	ds_write_b128 v160, v[56:59] offset:10880
	ds_write_b128 v160, v[60:63] offset:12240
	ds_write_b128 v160, v[52:55] offset:13600
	ds_write_b128 v160, v[44:47] offset:14960
	ds_write_b128 v160, v[36:39] offset:16320
	ds_write_b128 v160, v[28:31] offset:17680
	ds_write_b128 v160, v[20:23] offset:19040
	ds_write_b128 v160, v[12:15] offset:20400
	ds_write_b128 v160, v[4:7] offset:21760
	s_waitcnt lgkmcnt(0)
	s_barrier
	buffer_gl0_inv
	ds_read_b128 v[0:3], v160
	ds_read_b128 v[4:7], v160 offset:1360
	s_clause 0x3
	buffer_load_dword v26, off, s[60:63], 0 offset:124
	buffer_load_dword v27, off, s[60:63], 0 offset:128
	;; [unrolled: 1-line block ×4, first 2 shown]
	ds_read_b128 v[8:11], v160 offset:2720
	s_clause 0x6
	buffer_load_dword v16, off, s[60:63], 0 offset:48
	buffer_load_dword v17, off, s[60:63], 0 offset:52
	;; [unrolled: 1-line block ×7, first 2 shown]
	s_mov_b32 s0, 0xda71079e
	s_mov_b32 s1, 0x3f46ad43
	s_mul_i32 s2, s9, 0x550
	s_mul_hi_u32 s3, s8, 0x550
	s_add_i32 s2, s3, s2
	s_mul_i32 s3, s8, 0x550
	s_waitcnt vmcnt(7) lgkmcnt(2)
	v_mul_f64 v[12:13], v[28:29], v[2:3]
	v_mul_f64 v[14:15], v[28:29], v[0:1]
	s_waitcnt vmcnt(6)
	v_mov_b32_e32 v19, v16
	s_waitcnt vmcnt(4)
	v_mad_u64_u32 v[22:23], null, s8, v34, 0
	s_waitcnt vmcnt(0) lgkmcnt(1)
	v_mul_f64 v[16:17], v[38:39], v[6:7]
	v_mul_f64 v[28:29], v[38:39], v[4:5]
	v_mad_u64_u32 v[20:21], null, s10, v19, 0
	v_mov_b32_e32 v18, v21
	v_fma_f64 v[24:25], v[26:27], v[0:1], v[12:13]
	v_fma_f64 v[26:27], v[26:27], v[2:3], -v[14:15]
	ds_read_b128 v[0:3], v160 offset:4080
	s_clause 0x3
	buffer_load_dword v38, off, s[60:63], 0 offset:92
	buffer_load_dword v39, off, s[60:63], 0 offset:96
	;; [unrolled: 1-line block ×4, first 2 shown]
	v_mad_u64_u32 v[13:14], null, s11, v19, v[18:19]
	v_mov_b32_e32 v12, v23
	v_fma_f64 v[28:29], v[36:37], v[6:7], -v[28:29]
	v_mad_u64_u32 v[18:19], null, s9, v34, v[12:13]
	v_mov_b32_e32 v21, v13
	ds_read_b128 v[12:15], v160 offset:5440
	v_fma_f64 v[34:35], v[36:37], v[4:5], v[16:17]
	ds_read_b128 v[4:7], v160 offset:8160
	v_mov_b32_e32 v23, v18
	v_mul_f64 v[16:17], v[24:25], s[0:1]
	v_mul_f64 v[18:19], v[26:27], s[0:1]
	v_lshlrev_b64 v[24:25], 4, v[20:21]
	v_lshlrev_b64 v[26:27], 4, v[22:23]
	ds_read_b128 v[20:23], v160 offset:6800
	s_clause 0x3
	buffer_load_dword v52, off, s[60:63], 0 offset:76
	buffer_load_dword v53, off, s[60:63], 0 offset:80
	;; [unrolled: 1-line block ×4, first 2 shown]
	s_waitcnt vmcnt(4) lgkmcnt(4)
	v_mul_f64 v[30:31], v[40:41], v[10:11]
	v_mul_f64 v[32:33], v[40:41], v[8:9]
	v_fma_f64 v[30:31], v[38:39], v[8:9], v[30:31]
	v_fma_f64 v[32:33], v[38:39], v[10:11], -v[32:33]
	s_waitcnt vmcnt(0) lgkmcnt(3)
	v_mul_f64 v[36:37], v[54:55], v[2:3]
	v_mul_f64 v[38:39], v[54:55], v[0:1]
	s_clause 0x3
	buffer_load_dword v54, off, s[60:63], 0 offset:140
	buffer_load_dword v55, off, s[60:63], 0 offset:144
	;; [unrolled: 1-line block ×4, first 2 shown]
	v_add_co_u32 v8, vcc_lo, s4, v24
	v_add_co_ci_u32_e32 v9, vcc_lo, s5, v25, vcc_lo
	v_mul_f64 v[10:11], v[28:29], s[0:1]
	v_add_co_u32 v42, vcc_lo, v8, v26
	v_add_co_ci_u32_e32 v43, vcc_lo, v9, v27, vcc_lo
	v_mul_f64 v[8:9], v[34:35], s[0:1]
	v_mul_f64 v[28:29], v[30:31], s[0:1]
	;; [unrolled: 1-line block ×3, first 2 shown]
	v_fma_f64 v[32:33], v[52:53], v[0:1], v[36:37]
	v_fma_f64 v[36:37], v[52:53], v[2:3], -v[38:39]
	v_add_co_u32 v38, vcc_lo, v42, s3
	v_add_co_ci_u32_e32 v39, vcc_lo, s2, v43, vcc_lo
	s_waitcnt vmcnt(0) lgkmcnt(2)
	v_mul_f64 v[40:41], v[56:57], v[14:15]
	v_mul_f64 v[34:35], v[56:57], v[12:13]
	s_clause 0x3
	buffer_load_dword v56, off, s[60:63], 0 offset:156
	buffer_load_dword v57, off, s[60:63], 0 offset:160
	;; [unrolled: 1-line block ×4, first 2 shown]
	ds_read_b128 v[24:27], v160 offset:9520
	v_fma_f64 v[12:13], v[54:55], v[12:13], v[40:41]
	v_add_co_u32 v40, vcc_lo, v38, s3
	v_add_co_ci_u32_e32 v41, vcc_lo, s2, v39, vcc_lo
	v_fma_f64 v[14:15], v[54:55], v[14:15], -v[34:35]
	v_mul_f64 v[12:13], v[12:13], s[0:1]
	v_mul_f64 v[14:15], v[14:15], s[0:1]
	s_waitcnt vmcnt(0) lgkmcnt(1)
	v_mul_f64 v[44:45], v[58:59], v[22:23]
	v_mul_f64 v[46:47], v[58:59], v[20:21]
	s_clause 0x3
	buffer_load_dword v58, off, s[60:63], 0 offset:204
	buffer_load_dword v59, off, s[60:63], 0 offset:208
	;; [unrolled: 1-line block ×4, first 2 shown]
	ds_read_b128 v[0:3], v160 offset:10880
	v_fma_f64 v[20:21], v[56:57], v[20:21], v[44:45]
	v_fma_f64 v[22:23], v[56:57], v[22:23], -v[46:47]
	s_waitcnt vmcnt(0)
	v_mul_f64 v[50:51], v[60:61], v[4:5]
	v_mul_f64 v[48:49], v[60:61], v[6:7]
	v_fma_f64 v[44:45], v[58:59], v[6:7], -v[50:51]
	s_clause 0x3
	buffer_load_dword v50, off, s[60:63], 0 offset:236
	buffer_load_dword v51, off, s[60:63], 0 offset:240
	;; [unrolled: 1-line block ×4, first 2 shown]
	global_store_dwordx4 v[42:43], v[16:19], off
	global_store_dwordx4 v[38:39], v[8:11], off
	;; [unrolled: 1-line block ×3, first 2 shown]
	v_fma_f64 v[34:35], v[58:59], v[4:5], v[48:49]
	ds_read_b128 v[8:11], v160 offset:12240
	v_mul_f64 v[4:5], v[32:33], s[0:1]
	v_mul_f64 v[6:7], v[36:37], s[0:1]
	;; [unrolled: 1-line block ×4, first 2 shown]
	v_add_co_u32 v30, vcc_lo, v40, s3
	v_add_co_ci_u32_e32 v31, vcc_lo, s2, v41, vcc_lo
	v_add_co_u32 v38, vcc_lo, v30, s3
	v_add_co_ci_u32_e32 v39, vcc_lo, s2, v31, vcc_lo
	;; [unrolled: 2-line block ×3, first 2 shown]
	v_mul_f64 v[22:23], v[44:45], s[0:1]
	v_mul_f64 v[20:21], v[34:35], s[0:1]
	s_waitcnt vmcnt(0) lgkmcnt(2)
	v_mul_f64 v[46:47], v[52:53], v[26:27]
	v_mul_f64 v[48:49], v[52:53], v[24:25]
	s_clause 0x3
	buffer_load_dword v52, off, s[60:63], 0 offset:252
	buffer_load_dword v53, off, s[60:63], 0 offset:256
	buffer_load_dword v54, off, s[60:63], 0 offset:260
	buffer_load_dword v55, off, s[60:63], 0 offset:264
	v_fma_f64 v[34:35], v[50:51], v[24:25], v[46:47]
	v_fma_f64 v[36:37], v[50:51], v[26:27], -v[48:49]
	ds_read_b128 v[24:27], v160 offset:13600
	s_waitcnt vmcnt(0) lgkmcnt(2)
	v_mul_f64 v[28:29], v[54:55], v[2:3]
	v_mul_f64 v[32:33], v[54:55], v[0:1]
	s_clause 0x3
	buffer_load_dword v54, off, s[60:63], 0 offset:108
	buffer_load_dword v55, off, s[60:63], 0 offset:112
	;; [unrolled: 1-line block ×4, first 2 shown]
	global_store_dwordx4 v[30:31], v[4:7], off
	global_store_dwordx4 v[38:39], v[12:15], off
	v_mul_f64 v[6:7], v[36:37], s[0:1]
	v_mul_f64 v[4:5], v[34:35], s[0:1]
	v_fma_f64 v[42:43], v[52:53], v[0:1], v[28:29]
	v_add_co_u32 v28, vcc_lo, v40, s3
	v_add_co_ci_u32_e32 v29, vcc_lo, s2, v41, vcc_lo
	v_fma_f64 v[44:45], v[52:53], v[2:3], -v[32:33]
	v_add_co_u32 v52, vcc_lo, v28, s3
	ds_read_b128 v[0:3], v160 offset:14960
	global_store_dwordx4 v[40:41], v[16:19], off
	global_store_dwordx4 v[28:29], v[20:23], off
	v_add_co_ci_u32_e32 v53, vcc_lo, s2, v29, vcc_lo
	v_mul_f64 v[32:33], v[42:43], s[0:1]
	v_mul_f64 v[34:35], v[44:45], s[0:1]
	s_waitcnt vmcnt(0) lgkmcnt(2)
	v_mul_f64 v[46:47], v[56:57], v[10:11]
	v_mul_f64 v[48:49], v[56:57], v[8:9]
	s_clause 0x3
	buffer_load_dword v56, off, s[60:63], 0 offset:172
	buffer_load_dword v57, off, s[60:63], 0 offset:176
	;; [unrolled: 1-line block ×4, first 2 shown]
	ds_read_b128 v[12:15], v160 offset:16320
	ds_read_b128 v[16:19], v160 offset:17680
	;; [unrolled: 1-line block ×5, first 2 shown]
	s_clause 0x3
	buffer_load_dword v68, off, s[60:63], 0 offset:188
	buffer_load_dword v69, off, s[60:63], 0 offset:192
	;; [unrolled: 1-line block ×4, first 2 shown]
	v_fma_f64 v[8:9], v[54:55], v[8:9], v[46:47]
	v_fma_f64 v[10:11], v[54:55], v[10:11], -v[48:49]
	v_add_co_u32 v46, vcc_lo, v52, s3
	v_add_co_ci_u32_e32 v47, vcc_lo, s2, v53, vcc_lo
	s_waitcnt vmcnt(4) lgkmcnt(6)
	v_mul_f64 v[40:41], v[58:59], v[26:27]
	v_mul_f64 v[50:51], v[58:59], v[24:25]
	s_waitcnt vmcnt(0) lgkmcnt(5)
	v_mul_f64 v[42:43], v[70:71], v[2:3]
	v_mul_f64 v[44:45], v[70:71], v[0:1]
	s_clause 0x3
	buffer_load_dword v70, off, s[60:63], 0 offset:220
	buffer_load_dword v71, off, s[60:63], 0 offset:224
	;; [unrolled: 1-line block ×4, first 2 shown]
	v_fma_f64 v[24:25], v[56:57], v[24:25], v[40:41]
	v_fma_f64 v[26:27], v[56:57], v[26:27], -v[50:51]
	s_waitcnt vmcnt(0) lgkmcnt(4)
	v_mul_f64 v[48:49], v[72:73], v[14:15]
	v_mul_f64 v[54:55], v[72:73], v[12:13]
	s_clause 0x3
	buffer_load_dword v72, off, s[60:63], 0 offset:268
	buffer_load_dword v73, off, s[60:63], 0 offset:272
	buffer_load_dword v74, off, s[60:63], 0 offset:276
	buffer_load_dword v75, off, s[60:63], 0 offset:280
	v_fma_f64 v[12:13], v[70:71], v[12:13], v[48:49]
	v_fma_f64 v[14:15], v[70:71], v[14:15], -v[54:55]
	v_mul_f64 v[12:13], v[12:13], s[0:1]
	v_mul_f64 v[14:15], v[14:15], s[0:1]
	s_waitcnt vmcnt(0) lgkmcnt(3)
	v_mul_f64 v[40:41], v[74:75], v[18:19]
	v_mul_f64 v[50:51], v[74:75], v[16:17]
	s_clause 0x3
	buffer_load_dword v74, off, s[60:63], 0 offset:284
	buffer_load_dword v75, off, s[60:63], 0 offset:288
	buffer_load_dword v76, off, s[60:63], 0 offset:292
	buffer_load_dword v77, off, s[60:63], 0 offset:296
	v_fma_f64 v[16:17], v[72:73], v[16:17], v[40:41]
	v_fma_f64 v[18:19], v[72:73], v[18:19], -v[50:51]
	v_mul_f64 v[16:17], v[16:17], s[0:1]
	v_mul_f64 v[18:19], v[18:19], s[0:1]
	;; [unrolled: 12-line block ×3, first 2 shown]
	s_waitcnt vmcnt(0) lgkmcnt(1)
	v_mul_f64 v[60:61], v[78:79], v[30:31]
	v_mul_f64 v[62:63], v[78:79], v[28:29]
	s_clause 0x3
	buffer_load_dword v78, off, s[60:63], 0 offset:316
	buffer_load_dword v79, off, s[60:63], 0 offset:320
	buffer_load_dword v80, off, s[60:63], 0 offset:324
	buffer_load_dword v81, off, s[60:63], 0 offset:328
	global_store_dwordx4 v[52:53], v[4:7], off
	global_store_dwordx4 v[46:47], v[32:35], off
	v_mul_f64 v[4:5], v[8:9], s[0:1]
	v_mul_f64 v[6:7], v[10:11], s[0:1]
	v_fma_f64 v[8:9], v[68:69], v[0:1], v[42:43]
	v_fma_f64 v[10:11], v[68:69], v[2:3], -v[44:45]
	v_mul_f64 v[0:1], v[24:25], s[0:1]
	v_mul_f64 v[2:3], v[26:27], s[0:1]
	v_add_co_u32 v32, vcc_lo, v46, s3
	v_add_co_ci_u32_e32 v33, vcc_lo, s2, v47, vcc_lo
	v_add_co_u32 v34, vcc_lo, v32, s3
	v_add_co_ci_u32_e32 v35, vcc_lo, s2, v33, vcc_lo
	v_fma_f64 v[24:25], v[76:77], v[28:29], v[60:61]
	v_fma_f64 v[26:27], v[76:77], v[30:31], -v[62:63]
	global_store_dwordx4 v[32:33], v[4:7], off
	v_mul_f64 v[8:9], v[8:9], s[0:1]
	v_mul_f64 v[10:11], v[10:11], s[0:1]
	global_store_dwordx4 v[34:35], v[0:3], off
	v_mul_f64 v[24:25], v[24:25], s[0:1]
	v_mul_f64 v[26:27], v[26:27], s[0:1]
	s_waitcnt vmcnt(0) lgkmcnt(0)
	v_mul_f64 v[64:65], v[80:81], v[38:39]
	v_mul_f64 v[66:67], v[80:81], v[36:37]
	v_fma_f64 v[28:29], v[78:79], v[36:37], v[64:65]
	v_fma_f64 v[30:31], v[78:79], v[38:39], -v[66:67]
	v_add_co_u32 v36, vcc_lo, v34, s3
	v_add_co_ci_u32_e32 v37, vcc_lo, s2, v35, vcc_lo
	v_add_co_u32 v38, vcc_lo, v36, s3
	v_add_co_ci_u32_e32 v39, vcc_lo, s2, v37, vcc_lo
	global_store_dwordx4 v[36:37], v[8:11], off
	v_add_co_u32 v40, vcc_lo, v38, s3
	v_add_co_ci_u32_e32 v41, vcc_lo, s2, v39, vcc_lo
	v_add_co_u32 v4, vcc_lo, v40, s3
	v_add_co_ci_u32_e32 v5, vcc_lo, s2, v41, vcc_lo
	v_mul_f64 v[28:29], v[28:29], s[0:1]
	v_mul_f64 v[30:31], v[30:31], s[0:1]
	v_add_co_u32 v0, vcc_lo, v4, s3
	v_add_co_ci_u32_e32 v1, vcc_lo, s2, v5, vcc_lo
	v_add_co_u32 v2, vcc_lo, v0, s3
	v_add_co_ci_u32_e32 v3, vcc_lo, s2, v1, vcc_lo
	global_store_dwordx4 v[38:39], v[12:15], off
	global_store_dwordx4 v[40:41], v[16:19], off
	;; [unrolled: 1-line block ×5, first 2 shown]
.LBB0_10:
	s_endpgm
	.section	.rodata,"a",@progbits
	.p2align	6, 0x0
	.amdhsa_kernel bluestein_single_back_len1445_dim1_dp_op_CI_CI
		.amdhsa_group_segment_fixed_size 23120
		.amdhsa_private_segment_fixed_size 836
		.amdhsa_kernarg_size 104
		.amdhsa_user_sgpr_count 6
		.amdhsa_user_sgpr_private_segment_buffer 1
		.amdhsa_user_sgpr_dispatch_ptr 0
		.amdhsa_user_sgpr_queue_ptr 0
		.amdhsa_user_sgpr_kernarg_segment_ptr 1
		.amdhsa_user_sgpr_dispatch_id 0
		.amdhsa_user_sgpr_flat_scratch_init 0
		.amdhsa_user_sgpr_private_segment_size 0
		.amdhsa_wavefront_size32 1
		.amdhsa_uses_dynamic_stack 0
		.amdhsa_system_sgpr_private_segment_wavefront_offset 1
		.amdhsa_system_sgpr_workgroup_id_x 1
		.amdhsa_system_sgpr_workgroup_id_y 0
		.amdhsa_system_sgpr_workgroup_id_z 0
		.amdhsa_system_sgpr_workgroup_info 0
		.amdhsa_system_vgpr_workitem_id 0
		.amdhsa_next_free_vgpr 256
		.amdhsa_next_free_sgpr 64
		.amdhsa_reserve_vcc 1
		.amdhsa_reserve_flat_scratch 0
		.amdhsa_float_round_mode_32 0
		.amdhsa_float_round_mode_16_64 0
		.amdhsa_float_denorm_mode_32 3
		.amdhsa_float_denorm_mode_16_64 3
		.amdhsa_dx10_clamp 1
		.amdhsa_ieee_mode 1
		.amdhsa_fp16_overflow 0
		.amdhsa_workgroup_processor_mode 1
		.amdhsa_memory_ordered 1
		.amdhsa_forward_progress 0
		.amdhsa_shared_vgpr_count 0
		.amdhsa_exception_fp_ieee_invalid_op 0
		.amdhsa_exception_fp_denorm_src 0
		.amdhsa_exception_fp_ieee_div_zero 0
		.amdhsa_exception_fp_ieee_overflow 0
		.amdhsa_exception_fp_ieee_underflow 0
		.amdhsa_exception_fp_ieee_inexact 0
		.amdhsa_exception_int_div_zero 0
	.end_amdhsa_kernel
	.text
.Lfunc_end0:
	.size	bluestein_single_back_len1445_dim1_dp_op_CI_CI, .Lfunc_end0-bluestein_single_back_len1445_dim1_dp_op_CI_CI
                                        ; -- End function
	.section	.AMDGPU.csdata,"",@progbits
; Kernel info:
; codeLenInByte = 40636
; NumSgprs: 66
; NumVgprs: 256
; ScratchSize: 836
; MemoryBound: 0
; FloatMode: 240
; IeeeMode: 1
; LDSByteSize: 23120 bytes/workgroup (compile time only)
; SGPRBlocks: 8
; VGPRBlocks: 31
; NumSGPRsForWavesPerEU: 66
; NumVGPRsForWavesPerEU: 256
; Occupancy: 4
; WaveLimiterHint : 1
; COMPUTE_PGM_RSRC2:SCRATCH_EN: 1
; COMPUTE_PGM_RSRC2:USER_SGPR: 6
; COMPUTE_PGM_RSRC2:TRAP_HANDLER: 0
; COMPUTE_PGM_RSRC2:TGID_X_EN: 1
; COMPUTE_PGM_RSRC2:TGID_Y_EN: 0
; COMPUTE_PGM_RSRC2:TGID_Z_EN: 0
; COMPUTE_PGM_RSRC2:TIDIG_COMP_CNT: 0
	.text
	.p2alignl 6, 3214868480
	.fill 48, 4, 3214868480
	.type	__hip_cuid_d64f90d99b891b9,@object ; @__hip_cuid_d64f90d99b891b9
	.section	.bss,"aw",@nobits
	.globl	__hip_cuid_d64f90d99b891b9
__hip_cuid_d64f90d99b891b9:
	.byte	0                               ; 0x0
	.size	__hip_cuid_d64f90d99b891b9, 1

	.ident	"AMD clang version 19.0.0git (https://github.com/RadeonOpenCompute/llvm-project roc-6.4.0 25133 c7fe45cf4b819c5991fe208aaa96edf142730f1d)"
	.section	".note.GNU-stack","",@progbits
	.addrsig
	.addrsig_sym __hip_cuid_d64f90d99b891b9
	.amdgpu_metadata
---
amdhsa.kernels:
  - .args:
      - .actual_access:  read_only
        .address_space:  global
        .offset:         0
        .size:           8
        .value_kind:     global_buffer
      - .actual_access:  read_only
        .address_space:  global
        .offset:         8
        .size:           8
        .value_kind:     global_buffer
      - .actual_access:  read_only
        .address_space:  global
        .offset:         16
        .size:           8
        .value_kind:     global_buffer
      - .actual_access:  read_only
        .address_space:  global
        .offset:         24
        .size:           8
        .value_kind:     global_buffer
      - .actual_access:  read_only
        .address_space:  global
        .offset:         32
        .size:           8
        .value_kind:     global_buffer
      - .offset:         40
        .size:           8
        .value_kind:     by_value
      - .address_space:  global
        .offset:         48
        .size:           8
        .value_kind:     global_buffer
      - .address_space:  global
        .offset:         56
        .size:           8
        .value_kind:     global_buffer
      - .address_space:  global
        .offset:         64
        .size:           8
        .value_kind:     global_buffer
      - .address_space:  global
        .offset:         72
        .size:           8
        .value_kind:     global_buffer
      - .offset:         80
        .size:           4
        .value_kind:     by_value
      - .address_space:  global
        .offset:         88
        .size:           8
        .value_kind:     global_buffer
      - .address_space:  global
        .offset:         96
        .size:           8
        .value_kind:     global_buffer
    .group_segment_fixed_size: 23120
    .kernarg_segment_align: 8
    .kernarg_segment_size: 104
    .language:       OpenCL C
    .language_version:
      - 2
      - 0
    .max_flat_workgroup_size: 85
    .name:           bluestein_single_back_len1445_dim1_dp_op_CI_CI
    .private_segment_fixed_size: 836
    .sgpr_count:     66
    .sgpr_spill_count: 0
    .symbol:         bluestein_single_back_len1445_dim1_dp_op_CI_CI.kd
    .uniform_work_group_size: 1
    .uses_dynamic_stack: false
    .vgpr_count:     256
    .vgpr_spill_count: 220
    .wavefront_size: 32
    .workgroup_processor_mode: 1
amdhsa.target:   amdgcn-amd-amdhsa--gfx1030
amdhsa.version:
  - 1
  - 2
...

	.end_amdgpu_metadata
